;; amdgpu-corpus repo=ROCm/rocFFT kind=compiled arch=gfx1100 opt=O3
	.text
	.amdgcn_target "amdgcn-amd-amdhsa--gfx1100"
	.amdhsa_code_object_version 6
	.protected	bluestein_single_fwd_len136_dim1_dp_op_CI_CI ; -- Begin function bluestein_single_fwd_len136_dim1_dp_op_CI_CI
	.globl	bluestein_single_fwd_len136_dim1_dp_op_CI_CI
	.p2align	8
	.type	bluestein_single_fwd_len136_dim1_dp_op_CI_CI,@function
bluestein_single_fwd_len136_dim1_dp_op_CI_CI: ; @bluestein_single_fwd_len136_dim1_dp_op_CI_CI
; %bb.0:
	s_load_b128 s[8:11], s[0:1], 0x28
	v_mul_u32_u24_e32 v1, 0xf10, v0
	s_mov_b32 s2, exec_lo
	s_delay_alu instid0(VALU_DEP_1) | instskip(NEXT) | instid1(VALU_DEP_1)
	v_lshrrev_b32_e32 v1, 16, v1
	v_mad_u64_u32 v[4:5], null, s15, 7, v[1:2]
	v_mov_b32_e32 v5, 0
	s_waitcnt lgkmcnt(0)
	s_delay_alu instid0(VALU_DEP_1)
	v_cmpx_gt_u64_e64 s[8:9], v[4:5]
	s_cbranch_execz .LBB0_15
; %bb.1:
	v_mul_hi_u32 v2, 0x24924925, v4
	v_mul_lo_u16 v1, v1, 17
	s_clause 0x1
	s_load_b64 s[8:9], s[0:1], 0x0
	s_load_b64 s[12:13], s[0:1], 0x38
	s_delay_alu instid0(VALU_DEP_1) | instskip(NEXT) | instid1(VALU_DEP_3)
	v_sub_nc_u16 v0, v0, v1
	v_sub_nc_u32_e32 v3, v4, v2
	s_delay_alu instid0(VALU_DEP_2) | instskip(SKIP_2) | instid1(VALU_DEP_4)
	v_and_b32_e32 v171, 0xffff, v0
	v_cmp_gt_u16_e32 vcc_lo, 8, v0
	v_mov_b32_e32 v0, v4
	v_lshrrev_b32_e32 v3, 1, v3
	s_delay_alu instid0(VALU_DEP_4) | instskip(SKIP_1) | instid1(VALU_DEP_3)
	v_lshlrev_b32_e32 v249, 4, v171
	v_or_b32_e32 v112, 0x68, v171
	v_add_nc_u32_e32 v2, v3, v2
	s_delay_alu instid0(VALU_DEP_1) | instskip(NEXT) | instid1(VALU_DEP_1)
	v_lshrrev_b32_e32 v2, 2, v2
	v_mul_lo_u32 v1, v2, 7
	scratch_store_b64 off, v[0:1], off offset:4 ; 8-byte Folded Spill
	v_sub_nc_u32_e32 v0, v4, v1
	v_or_b32_e32 v1, 8, v171
	s_delay_alu instid0(VALU_DEP_2)
	v_mul_u32_u24_e32 v172, 0x88, v0
	scratch_store_b32 off, v1, off offset:60 ; 4-byte Folded Spill
	v_or_b32_e32 v1, 16, v171
	v_or_b32_e32 v0, 40, v171
	scratch_store_b32 off, v1, off offset:56 ; 4-byte Folded Spill
	v_or_b32_e32 v1, 24, v171
	scratch_store_b32 off, v0, off offset:44 ; 4-byte Folded Spill
	;; [unrolled: 2-line block ×10, first 2 shown]
	v_or_b32_e32 v1, 0x60, v171
	v_lshlrev_b32_e32 v0, 4, v0
	s_clause 0x1
	scratch_store_b32 off, v1, off offset:16
	scratch_store_b32 off, v0, off
	s_and_saveexec_b32 s3, vcc_lo
	s_cbranch_execz .LBB0_3
; %bb.2:
	s_load_b64 s[4:5], s[0:1], 0x18
	v_or_b32_e32 v45, 40, v171
	v_or_b32_e32 v37, 8, v171
	;; [unrolled: 1-line block ×15, first 2 shown]
	s_waitcnt lgkmcnt(0)
	s_load_b128 s[4:7], s[4:5], 0x0
	s_clause 0x3
	global_load_b128 v[0:3], v249, s[8:9]
	global_load_b128 v[4:7], v249, s[8:9] offset:128
	global_load_b128 v[8:11], v249, s[8:9] offset:256
	;; [unrolled: 1-line block ×3, first 2 shown]
	scratch_load_b64 v[16:17], off, off offset:4 ; 8-byte Folded Reload
	s_waitcnt lgkmcnt(0)
	v_mad_u64_u32 v[32:33], null, s4, v45, 0
	v_mad_u64_u32 v[18:19], null, s4, v171, 0
	;; [unrolled: 1-line block ×7, first 2 shown]
	s_delay_alu instid0(VALU_DEP_4) | instskip(NEXT) | instid1(VALU_DEP_4)
	v_mad_u64_u32 v[35:36], null, s5, v37, v[21:22]
	v_mad_u64_u32 v[36:37], null, s5, v38, v[23:24]
	;; [unrolled: 1-line block ×6, first 2 shown]
	s_delay_alu instid0(VALU_DEP_4)
	v_dual_mov_b32 v23, v36 :: v_dual_mov_b32 v52, v57
	v_mad_u64_u32 v[80:81], null, s4, v63, 0
	v_mov_b32_e32 v53, v59
	v_mad_u64_u32 v[48:49], null, s4, v43, 0
	v_mov_b32_e32 v21, v35
	v_mad_u64_u32 v[72:73], null, s4, v64, 0
	s_delay_alu instid0(VALU_DEP_4)
	v_mad_u64_u32 v[54:55], null, s5, v60, v[52:53]
	v_mov_b32_e32 v25, v37
	v_lshlrev_b64 v[22:23], 4, v[22:23]
	v_mad_u64_u32 v[88:89], null, s4, v87, 0
	v_mad_u64_u32 v[96:97], null, s4, v95, 0
	;; [unrolled: 1-line block ×3, first 2 shown]
	v_mov_b32_e32 v57, v54
	v_mad_u64_u32 v[104:105], null, s4, v100, 0
	v_mov_b32_e32 v84, v89
	v_mad_u64_u32 v[106:107], null, s4, v102, 0
	s_delay_alu instid0(VALU_DEP_4) | instskip(SKIP_1) | instid1(VALU_DEP_4)
	v_lshlrev_b64 v[56:57], 4, v[56:57]
	v_lshlrev_b64 v[58:59], 4, v[58:59]
	v_mad_u64_u32 v[85:86], null, s5, v87, v[84:85]
	v_mov_b32_e32 v28, v33
	v_mov_b32_e32 v60, v73
	s_delay_alu instid0(VALU_DEP_2) | instskip(NEXT) | instid1(VALU_DEP_4)
	v_mad_u64_u32 v[38:39], null, s5, v42, v[27:28]
	v_mov_b32_e32 v89, v85
	s_delay_alu instid0(VALU_DEP_3) | instskip(SKIP_1) | instid1(VALU_DEP_3)
	v_mad_u64_u32 v[61:62], null, s5, v64, v[60:61]
	v_mov_b32_e32 v60, v81
	v_lshlrev_b64 v[88:89], 4, v[88:89]
	v_mov_b32_e32 v27, v38
	s_delay_alu instid0(VALU_DEP_3) | instskip(NEXT) | instid1(VALU_DEP_2)
	v_mad_u64_u32 v[66:67], null, s5, v63, v[60:61]
	v_lshlrev_b64 v[35:36], 4, v[26:27]
	v_mov_b32_e32 v73, v61
	s_delay_alu instid0(VALU_DEP_1) | instskip(NEXT) | instid1(VALU_DEP_4)
	v_lshlrev_b64 v[82:83], 4, v[72:73]
	v_mov_b32_e32 v81, v66
	s_delay_alu instid0(VALU_DEP_1) | instskip(SKIP_2) | instid1(VALU_DEP_1)
	v_lshlrev_b64 v[80:81], 4, v[80:81]
	s_waitcnt vmcnt(0)
	v_mov_b32_e32 v31, v16
	v_mad_u64_u32 v[16:17], null, s6, v31, 0
	s_delay_alu instid0(VALU_DEP_1) | instskip(SKIP_3) | instid1(VALU_DEP_4)
	v_mad_u64_u32 v[29:30], null, s7, v31, v[17:18]
	v_mad_u64_u32 v[30:31], null, s5, v171, v[19:20]
	v_mov_b32_e32 v34, v41
	v_lshlrev_b64 v[20:21], 4, v[20:21]
	v_mov_b32_e32 v17, v29
	v_mad_u64_u32 v[41:42], null, s5, v45, v[28:29]
	v_mov_b32_e32 v19, v30
	v_mad_u64_u32 v[37:38], null, s5, v44, v[34:35]
	s_delay_alu instid0(VALU_DEP_4) | instskip(NEXT) | instid1(VALU_DEP_3)
	v_lshlrev_b64 v[16:17], 4, v[16:17]
	v_lshlrev_b64 v[18:19], 4, v[18:19]
	v_mov_b32_e32 v33, v41
	s_delay_alu instid0(VALU_DEP_3) | instskip(NEXT) | instid1(VALU_DEP_1)
	v_add_co_u32 v123, s2, s10, v16
	v_add_co_ci_u32_e64 v124, s2, s11, v17, s2
	v_lshlrev_b64 v[16:17], 4, v[24:25]
	s_delay_alu instid0(VALU_DEP_3) | instskip(NEXT) | instid1(VALU_DEP_1)
	v_add_co_u32 v18, s2, v123, v18
	v_add_co_ci_u32_e64 v19, s2, v124, v19, s2
	v_add_co_u32 v20, s2, v123, v20
	s_delay_alu instid0(VALU_DEP_1) | instskip(SKIP_1) | instid1(VALU_DEP_1)
	v_add_co_ci_u32_e64 v21, s2, v124, v21, s2
	v_add_co_u32 v22, s2, v123, v22
	v_add_co_ci_u32_e64 v23, s2, v124, v23, s2
	v_add_co_u32 v16, s2, v123, v16
	s_delay_alu instid0(VALU_DEP_1) | instskip(SKIP_1) | instid1(VALU_DEP_1)
	v_add_co_ci_u32_e64 v17, s2, v124, v17, s2
	v_add_co_u32 v34, s2, v123, v35
	v_add_co_ci_u32_e64 v35, s2, v124, v36, s2
	v_mov_b32_e32 v36, v49
	v_mov_b32_e32 v41, v37
	v_lshlrev_b64 v[32:33], 4, v[32:33]
	s_clause 0x3
	global_load_b128 v[28:31], v[18:19], off
	global_load_b128 v[24:27], v[20:21], off
	;; [unrolled: 1-line block ×4, first 2 shown]
	v_mad_u64_u32 v[49:50], null, s5, v43, v[36:37]
	v_lshlrev_b64 v[50:51], 4, v[40:41]
	v_add_co_u32 v32, s2, v123, v32
	s_delay_alu instid0(VALU_DEP_1)
	v_add_co_ci_u32_e64 v33, s2, v124, v33, s2
	s_clause 0x1
	global_load_b128 v[36:39], v[34:35], off
	global_load_b128 v[32:35], v[32:33], off
	v_lshlrev_b64 v[48:49], 4, v[48:49]
	v_add_co_u32 v50, s2, v123, v50
	s_delay_alu instid0(VALU_DEP_1) | instskip(SKIP_4) | instid1(VALU_DEP_1)
	v_add_co_ci_u32_e64 v51, s2, v124, v51, s2
	s_clause 0x1
	global_load_b128 v[40:43], v249, s[8:9] offset:512
	global_load_b128 v[44:47], v249, s[8:9] offset:640
	v_add_co_u32 v52, s2, v123, v48
	v_add_co_ci_u32_e64 v53, s2, v124, v49, s2
	v_add_co_u32 v64, s2, v123, v56
	s_delay_alu instid0(VALU_DEP_1) | instskip(SKIP_1) | instid1(VALU_DEP_1)
	v_add_co_ci_u32_e64 v65, s2, v124, v57, s2
	v_add_co_u32 v68, s2, v123, v58
	v_add_co_ci_u32_e64 v69, s2, v124, v59, s2
	s_clause 0x1
	global_load_b128 v[48:51], v[50:51], off
	global_load_b128 v[52:55], v[52:53], off
	s_clause 0x1
	global_load_b128 v[56:59], v249, s[8:9] offset:768
	global_load_b128 v[60:63], v249, s[8:9] offset:896
	s_clause 0x1
	global_load_b128 v[64:67], v[64:65], off
	global_load_b128 v[68:71], v[68:69], off
	s_clause 0x1
	global_load_b128 v[72:75], v249, s[8:9] offset:1024
	global_load_b128 v[76:79], v249, s[8:9] offset:1152
	v_add_co_u32 v82, s2, v123, v82
	s_delay_alu instid0(VALU_DEP_1) | instskip(SKIP_4) | instid1(VALU_DEP_3)
	v_add_co_ci_u32_e64 v83, s2, v124, v83, s2
	v_add_co_u32 v86, s2, v123, v80
	v_mov_b32_e32 v80, v91
	v_add_co_ci_u32_e64 v87, s2, v124, v81, s2
	v_add_co_u32 v98, s2, v123, v88
	v_mad_u64_u32 v[91:92], null, s5, v112, v[80:81]
	v_mov_b32_e32 v92, v97
	v_add_co_ci_u32_e64 v99, s2, v124, v89, s2
	s_clause 0x1
	global_load_b128 v[80:83], v[82:83], off
	global_load_b128 v[84:87], v[86:87], off
	v_mad_u64_u32 v[93:94], null, s5, v95, v[92:93]
	v_mov_b32_e32 v92, v105
	v_lshlrev_b64 v[88:89], 4, v[90:91]
	s_delay_alu instid0(VALU_DEP_2) | instskip(SKIP_2) | instid1(VALU_DEP_4)
	v_mad_u64_u32 v[90:91], null, s5, v100, v[92:93]
	v_mov_b32_e32 v91, v107
	v_mov_b32_e32 v97, v93
	v_add_co_u32 v100, s2, v123, v88
	s_delay_alu instid0(VALU_DEP_1) | instskip(NEXT) | instid1(VALU_DEP_4)
	v_add_co_ci_u32_e64 v101, s2, v124, v89, s2
	v_mad_u64_u32 v[107:108], null, s5, v102, v[91:92]
	v_mov_b32_e32 v105, v90
	v_lshlrev_b64 v[108:109], 4, v[96:97]
	s_clause 0x1
	global_load_b128 v[88:91], v249, s[8:9] offset:1280
	global_load_b128 v[92:95], v249, s[8:9] offset:1408
	s_clause 0x1
	global_load_b128 v[96:99], v[98:99], off
	global_load_b128 v[100:103], v[100:101], off
	v_lshlrev_b64 v[104:105], 4, v[104:105]
	v_lshlrev_b64 v[119:120], 4, v[106:107]
	v_add_co_u32 v117, s2, v123, v108
	s_delay_alu instid0(VALU_DEP_1) | instskip(NEXT) | instid1(VALU_DEP_4)
	v_add_co_ci_u32_e64 v118, s2, v124, v109, s2
	v_add_co_u32 v121, s2, v123, v104
	s_delay_alu instid0(VALU_DEP_1)
	v_add_co_ci_u32_e64 v122, s2, v124, v105, s2
	v_add_co_u32 v133, s2, v123, v119
	s_clause 0x2
	global_load_b128 v[104:107], v249, s[8:9] offset:1536
	global_load_b128 v[108:111], v249, s[8:9] offset:1664
	;; [unrolled: 1-line block ×3, first 2 shown]
	v_add_co_ci_u32_e64 v134, s2, v124, v120, s2
	s_clause 0x1
	global_load_b128 v[117:120], v[117:118], off
	global_load_b128 v[121:124], v[121:122], off
	s_clause 0x1
	global_load_b128 v[125:128], v249, s[8:9] offset:1920
	global_load_b128 v[129:132], v249, s[8:9] offset:2048
	global_load_b128 v[133:136], v[133:134], off
	s_waitcnt vmcnt(29)
	v_mul_f64 v[137:138], v[30:31], v[2:3]
	v_mul_f64 v[2:3], v[28:29], v[2:3]
	s_waitcnt vmcnt(28)
	v_mul_f64 v[139:140], v[26:27], v[6:7]
	v_mul_f64 v[6:7], v[24:25], v[6:7]
	;; [unrolled: 3-line block ×7, first 2 shown]
	s_waitcnt vmcnt(18)
	v_mul_f64 v[151:152], v[54:55], v[62:63]
	s_waitcnt vmcnt(14)
	v_mul_f64 v[155:156], v[70:71], v[78:79]
	v_mul_f64 v[78:79], v[68:69], v[78:79]
	v_fma_f64 v[28:29], v[28:29], v[0:1], v[137:138]
	v_fma_f64 v[30:31], v[30:31], v[0:1], -v[2:3]
	v_fma_f64 v[0:1], v[24:25], v[4:5], v[139:140]
	v_fma_f64 v[2:3], v[26:27], v[4:5], -v[6:7]
	;; [unrolled: 2-line block ×4, first 2 shown]
	v_mul_f64 v[62:63], v[52:53], v[62:63]
	v_mul_f64 v[153:154], v[66:67], v[74:75]
	;; [unrolled: 1-line block ×3, first 2 shown]
	v_fma_f64 v[12:13], v[36:37], v[40:41], v[145:146]
	v_fma_f64 v[14:15], v[38:39], v[40:41], -v[42:43]
	v_fma_f64 v[16:17], v[32:33], v[44:45], v[147:148]
	v_fma_f64 v[18:19], v[34:35], v[44:45], -v[46:47]
	;; [unrolled: 2-line block ×3, first 2 shown]
	v_fma_f64 v[24:25], v[52:53], v[60:61], v[151:152]
	v_fma_f64 v[36:37], v[68:69], v[76:77], v[155:156]
	scratch_load_b32 v69, off, off          ; 4-byte Folded Reload
	s_waitcnt vmcnt(12)
	v_mul_f64 v[157:158], v[82:83], v[90:91]
	v_mul_f64 v[90:91], v[80:81], v[90:91]
	s_waitcnt vmcnt(11)
	v_mul_f64 v[159:160], v[86:87], v[94:95]
	v_mul_f64 v[94:95], v[84:85], v[94:95]
	v_fma_f64 v[38:39], v[70:71], v[76:77], -v[78:79]
	v_lshl_add_u32 v68, v172, 4, v249
	v_fma_f64 v[26:27], v[54:55], v[60:61], -v[62:63]
	v_fma_f64 v[32:33], v[64:65], v[72:73], v[153:154]
	v_fma_f64 v[34:35], v[66:67], v[72:73], -v[74:75]
	s_waitcnt vmcnt(8)
	v_mul_f64 v[161:162], v[98:99], v[106:107]
	v_mul_f64 v[106:107], v[96:97], v[106:107]
	s_waitcnt vmcnt(7)
	v_mul_f64 v[163:164], v[102:103], v[110:111]
	v_mul_f64 v[110:111], v[100:101], v[110:111]
	;; [unrolled: 3-line block ×5, first 2 shown]
	v_fma_f64 v[40:41], v[80:81], v[88:89], v[157:158]
	v_fma_f64 v[42:43], v[82:83], v[88:89], -v[90:91]
	v_fma_f64 v[44:45], v[84:85], v[92:93], v[159:160]
	v_fma_f64 v[46:47], v[86:87], v[92:93], -v[94:95]
	;; [unrolled: 2-line block ×7, first 2 shown]
	s_waitcnt vmcnt(0)
	ds_store_b128 v69, v[28:31]
	ds_store_b128 v68, v[0:3] offset:128
	ds_store_b128 v68, v[4:7] offset:256
	;; [unrolled: 1-line block ×16, first 2 shown]
.LBB0_3:
	s_or_b32 exec_lo, exec_lo, s3
	s_load_b64 s[2:3], s[0:1], 0x20
	v_lshlrev_b32_e32 v0, 4, v172
                                        ; implicit-def: $vgpr66_vgpr67
                                        ; implicit-def: $vgpr58_vgpr59
                                        ; implicit-def: $vgpr38_vgpr39
                                        ; implicit-def: $vgpr76_vgpr77
                                        ; implicit-def: $vgpr84_vgpr85
                                        ; implicit-def: $vgpr92_vgpr93
                                        ; implicit-def: $vgpr96_vgpr97
                                        ; implicit-def: $vgpr100_vgpr101
                                        ; implicit-def: $vgpr88_vgpr89
                                        ; implicit-def: $vgpr52_vgpr53
                                        ; implicit-def: $vgpr48_vgpr49
                                        ; implicit-def: $vgpr44_vgpr45
                                        ; implicit-def: $vgpr40_vgpr41
                                        ; implicit-def: $vgpr80_vgpr81
                                        ; implicit-def: $vgpr72_vgpr73
                                        ; implicit-def: $vgpr68_vgpr69
                                        ; implicit-def: $vgpr60_vgpr61
	scratch_store_b32 off, v0, off offset:12 ; 4-byte Folded Spill
	s_waitcnt lgkmcnt(0)
	s_waitcnt_vscnt null, 0x0
	s_barrier
	buffer_gl0_inv
	s_and_saveexec_b32 s4, vcc_lo
	s_cbranch_execz .LBB0_5
; %bb.4:
	scratch_load_b32 v1, off, off           ; 4-byte Folded Reload
	v_lshlrev_b32_e32 v0, 4, v172
	s_delay_alu instid0(VALU_DEP_1)
	v_lshl_add_u32 v0, v171, 4, v0
	s_waitcnt vmcnt(0)
	ds_load_b128 v[36:39], v1
	ds_load_b128 v[60:63], v0 offset:128
	ds_load_b128 v[56:59], v0 offset:256
	;; [unrolled: 1-line block ×16, first 2 shown]
.LBB0_5:
	s_or_b32 exec_lo, exec_lo, s4
	s_waitcnt lgkmcnt(0)
	v_add_f64 v[28:29], v[62:63], -v[42:43]
	v_add_f64 v[30:31], v[58:59], -v[46:47]
	s_mov_b32 s24, 0x5d8e7cdc
	s_mov_b32 s26, 0x2a9d6da3
	;; [unrolled: 1-line block ×4, first 2 shown]
	v_add_f64 v[127:128], v[40:41], v[60:61]
	v_add_f64 v[34:35], v[56:57], -v[44:45]
	s_mov_b32 s4, 0x370991
	s_mov_b32 s40, 0xacd6c6b4
	;; [unrolled: 1-line block ×4, first 2 shown]
	v_add_f64 v[106:107], v[56:57], v[44:45]
	s_mov_b32 s6, 0x75d4884
	s_mov_b32 s7, 0x3fe7a5f6
	v_add_f64 v[32:33], v[60:61], -v[40:41]
	v_add_f64 v[167:168], v[42:43], v[62:63]
	v_add_f64 v[110:111], v[58:59], v[46:47]
	v_add_f64 v[243:244], v[70:71], -v[50:51]
	s_mov_b32 s34, 0x7c9e640b
	s_mov_b32 s35, 0xbfeca52d
	v_add_f64 v[115:116], v[48:49], v[68:69]
	s_mov_b32 s10, 0x2b2883cd
	s_mov_b32 s28, 0xeb564b22
	;; [unrolled: 1-line block ×4, first 2 shown]
	v_add_f64 v[245:246], v[68:69], -v[48:49]
	v_add_f64 v[123:124], v[50:51], v[70:71]
	s_mov_b32 s36, 0x6c9a05f6
	s_mov_b32 s37, 0xbfe9895b
	v_add_f64 v[247:248], v[74:75], -v[54:55]
	v_add_f64 v[119:120], v[52:53], v[72:73]
	s_mov_b32 s14, 0x3259b75e
	s_mov_b32 s15, 0x3fb79ee6
	;; [unrolled: 4-line block ×3, first 2 shown]
	v_mul_f64 v[0:1], v[28:29], s[24:25]
	v_mul_f64 v[2:3], v[30:31], s[26:27]
	;; [unrolled: 1-line block ×5, first 2 shown]
	s_mov_b32 s51, 0x3fe0d888
	s_mov_b32 s50, s38
	v_mul_f64 v[4:5], v[34:35], s[26:27]
	v_mul_f64 v[8:9], v[34:35], s[28:29]
	v_add_f64 v[250:251], v[66:67], -v[90:91]
	v_mul_f64 v[18:19], v[30:31], s[50:51]
	s_mov_b32 s30, 0x923c349f
	s_mov_b32 s31, 0xbfeec746
	v_add_f64 v[131:132], v[64:65], v[88:89]
	s_mov_b32 s16, 0xc61f0d01
	s_mov_b32 s17, 0xbfd183b1
	v_add_f64 v[252:253], v[64:65], -v[88:89]
	v_mul_f64 v[12:13], v[34:35], s[36:37]
	v_add_f64 v[143:144], v[66:67], v[90:91]
	v_add_f64 v[108:109], v[82:83], -v[102:103]
	v_mul_f64 v[20:21], v[34:35], s[50:51]
	v_add_f64 v[139:140], v[100:101], v[80:81]
	s_mov_b32 s18, 0x6ed5f1bb
	s_mov_b32 s19, 0xbfe348c8
	v_add_f64 v[113:114], v[80:81], -v[100:101]
	v_mul_f64 v[16:17], v[34:35], s[40:41]
	v_add_f64 v[151:152], v[102:103], v[82:83]
	v_add_f64 v[117:118], v[78:79], -v[98:99]
	v_add_f64 v[147:148], v[76:77], v[96:97]
	s_mov_b32 s20, 0x910ea3b9
	s_mov_b32 s21, 0xbfeb34fa
	v_add_f64 v[121:122], v[76:77], -v[96:97]
	v_add_f64 v[159:160], v[78:79], v[98:99]
	v_add_f64 v[125:126], v[86:87], -v[94:95]
	v_add_f64 v[155:156], v[84:85], v[92:93]
	s_mov_b32 s22, 0x7faef3
	s_mov_b32 s23, 0xbfef7484
	v_add_f64 v[129:130], v[84:85], -v[92:93]
	v_add_f64 v[163:164], v[86:87], v[94:95]
	s_clause 0x2
	scratch_store_b64 off, v[2:3], off offset:64
	scratch_store_b64 off, v[0:1], off offset:128
	;; [unrolled: 1-line block ×3, first 2 shown]
	v_fma_f64 v[0:1], v[127:128], s[4:5], v[0:1]
	v_fma_f64 v[2:3], v[106:107], s[6:7], v[2:3]
	v_mul_f64 v[157:158], v[28:29], s[26:27]
	scratch_store_b64 off, v[4:5], off offset:80 ; 8-byte Folded Spill
	v_fma_f64 v[4:5], v[110:111], s[6:7], -v[4:5]
	v_mul_f64 v[161:162], v[32:33], s[26:27]
	s_mov_b32 s49, 0x3feec746
	s_mov_b32 s48, s30
	;; [unrolled: 1-line block ×6, first 2 shown]
	v_mul_f64 v[165:166], v[28:29], s[34:35]
	v_mul_f64 v[169:170], v[32:33], s[34:35]
	s_mov_b32 s47, 0x3fc7851a
	s_mov_b32 s46, s40
	v_mul_f64 v[254:255], v[28:29], s[28:29]
	v_fma_f64 v[14:15], v[106:107], s[22:23], v[14:15]
	v_mul_f64 v[173:174], v[32:33], s[28:29]
	s_mov_b32 s53, 0x3fe9895b
	s_mov_b32 s52, s36
	v_mul_f64 v[201:202], v[28:29], s[30:31]
	v_mul_f64 v[205:206], v[32:33], s[30:31]
	;; [unrolled: 1-line block ×17, first 2 shown]
	v_add_f64 v[0:1], v[36:37], v[0:1]
	v_mul_f64 v[191:192], v[129:130], s[42:43]
	v_mul_f64 v[239:240], v[28:29], s[38:39]
	;; [unrolled: 1-line block ×13, first 2 shown]
	s_load_b64 s[0:1], s[0:1], 0x8
	scratch_store_b64 off, v[6:7], off offset:232 ; 8-byte Folded Spill
	v_fma_f64 v[6:7], v[106:107], s[14:15], v[6:7]
	scratch_store_b64 off, v[8:9], off offset:240 ; 8-byte Folded Spill
	v_fma_f64 v[8:9], v[110:111], s[14:15], -v[8:9]
	scratch_store_b64 off, v[10:11], off offset:256 ; 8-byte Folded Spill
	v_fma_f64 v[10:11], v[106:107], s[18:19], v[10:11]
	scratch_store_b64 off, v[12:13], off offset:336 ; 8-byte Folded Spill
	v_fma_f64 v[12:13], v[110:111], s[18:19], -v[12:13]
	;; [unrolled: 4-line block ×3, first 2 shown]
	v_fma_f64 v[22:23], v[106:107], s[16:17], v[175:176]
	v_fma_f64 v[24:25], v[110:111], s[16:17], -v[179:180]
	scratch_store_b64 off, v[20:21], off offset:528 ; 8-byte Folded Spill
	v_fma_f64 v[20:21], v[110:111], s[20:21], -v[20:21]
	v_add_f64 v[0:1], v[2:3], v[0:1]
	v_mul_f64 v[2:3], v[32:33], s[24:25]
	v_mul_f64 v[32:33], v[32:33], s[40:41]
	v_fma_f64 v[26:27], v[106:107], s[10:11], v[209:210]
	v_fma_f64 v[213:214], v[110:111], s[10:11], -v[217:218]
	v_fma_f64 v[30:31], v[106:107], s[4:5], -v[137:138]
	v_fma_f64 v[141:142], v[110:111], s[4:5], v[34:35]
	v_fma_f64 v[137:138], v[106:107], s[4:5], v[137:138]
	v_fma_f64 v[34:35], v[110:111], s[4:5], -v[34:35]
	scratch_store_b64 off, v[2:3], off offset:224 ; 8-byte Folded Spill
	v_fma_f64 v[2:3], v[167:168], s[4:5], -v[2:3]
	s_delay_alu instid0(VALU_DEP_1) | instskip(NEXT) | instid1(VALU_DEP_1)
	v_add_f64 v[2:3], v[38:39], v[2:3]
	v_add_f64 v[2:3], v[4:5], v[2:3]
	v_mul_f64 v[4:5], v[243:244], s[34:35]
	scratch_store_b64 off, v[4:5], off offset:96 ; 8-byte Folded Spill
	v_fma_f64 v[4:5], v[115:116], s[10:11], v[4:5]
	s_delay_alu instid0(VALU_DEP_1) | instskip(SKIP_3) | instid1(VALU_DEP_1)
	v_add_f64 v[0:1], v[4:5], v[0:1]
	v_mul_f64 v[4:5], v[245:246], s[34:35]
	scratch_store_b64 off, v[4:5], off offset:120 ; 8-byte Folded Spill
	v_fma_f64 v[4:5], v[123:124], s[10:11], -v[4:5]
	v_add_f64 v[2:3], v[4:5], v[2:3]
	v_mul_f64 v[4:5], v[247:248], s[28:29]
	scratch_store_b64 off, v[4:5], off offset:112 ; 8-byte Folded Spill
	v_fma_f64 v[4:5], v[119:120], s[14:15], v[4:5]
	s_delay_alu instid0(VALU_DEP_1) | instskip(SKIP_3) | instid1(VALU_DEP_1)
	v_add_f64 v[0:1], v[4:5], v[0:1]
	v_mul_f64 v[4:5], v[104:105], s[28:29]
	scratch_store_b64 off, v[4:5], off offset:144 ; 8-byte Folded Spill
	v_fma_f64 v[4:5], v[135:136], s[14:15], -v[4:5]
	;; [unrolled: 9-line block ×6, first 2 shown]
	v_add_f64 v[2:3], v[4:5], v[2:3]
	v_fma_f64 v[4:5], v[127:128], s[6:7], v[157:158]
	s_delay_alu instid0(VALU_DEP_1) | instskip(NEXT) | instid1(VALU_DEP_1)
	v_add_f64 v[4:5], v[36:37], v[4:5]
	v_add_f64 v[4:5], v[6:7], v[4:5]
	v_fma_f64 v[6:7], v[167:168], s[6:7], -v[161:162]
	s_delay_alu instid0(VALU_DEP_1) | instskip(NEXT) | instid1(VALU_DEP_1)
	v_add_f64 v[6:7], v[38:39], v[6:7]
	v_add_f64 v[6:7], v[8:9], v[6:7]
	v_mul_f64 v[8:9], v[243:244], s[36:37]
	scratch_store_b64 off, v[8:9], off offset:248 ; 8-byte Folded Spill
	v_fma_f64 v[8:9], v[115:116], s[18:19], v[8:9]
	s_delay_alu instid0(VALU_DEP_1) | instskip(SKIP_3) | instid1(VALU_DEP_1)
	v_add_f64 v[4:5], v[8:9], v[4:5]
	v_mul_f64 v[8:9], v[245:246], s[36:37]
	scratch_store_b64 off, v[8:9], off offset:280 ; 8-byte Folded Spill
	v_fma_f64 v[8:9], v[123:124], s[18:19], -v[8:9]
	v_add_f64 v[6:7], v[8:9], v[6:7]
	v_mul_f64 v[8:9], v[247:248], s[40:41]
	scratch_store_b64 off, v[8:9], off offset:264 ; 8-byte Folded Spill
	v_fma_f64 v[8:9], v[119:120], s[22:23], v[8:9]
	s_delay_alu instid0(VALU_DEP_1) | instskip(SKIP_3) | instid1(VALU_DEP_1)
	v_add_f64 v[4:5], v[8:9], v[4:5]
	v_mul_f64 v[8:9], v[104:105], s[40:41]
	scratch_store_b64 off, v[8:9], off offset:344 ; 8-byte Folded Spill
	v_fma_f64 v[8:9], v[135:136], s[22:23], -v[8:9]
	;; [unrolled: 9-line block ×6, first 2 shown]
	v_add_f64 v[6:7], v[8:9], v[6:7]
	v_fma_f64 v[8:9], v[127:128], s[10:11], v[165:166]
	s_delay_alu instid0(VALU_DEP_1) | instskip(NEXT) | instid1(VALU_DEP_1)
	v_add_f64 v[8:9], v[36:37], v[8:9]
	v_add_f64 v[8:9], v[10:11], v[8:9]
	v_fma_f64 v[10:11], v[167:168], s[10:11], -v[169:170]
	s_delay_alu instid0(VALU_DEP_1) | instskip(NEXT) | instid1(VALU_DEP_1)
	v_add_f64 v[10:11], v[38:39], v[10:11]
	v_add_f64 v[10:11], v[12:13], v[10:11]
	v_mul_f64 v[12:13], v[243:244], s[46:47]
	scratch_store_b64 off, v[12:13], off offset:320 ; 8-byte Folded Spill
	v_fma_f64 v[12:13], v[115:116], s[22:23], v[12:13]
	s_delay_alu instid0(VALU_DEP_1) | instskip(SKIP_3) | instid1(SALU_CYCLE_1)
	v_add_f64 v[8:9], v[12:13], v[8:9]
	v_mul_f64 v[12:13], v[245:246], s[46:47]
	s_mov_b32 s47, 0x3fe58eea
	s_mov_b32 s46, s26
	v_mul_f64 v[221:222], v[117:118], s[46:47]
	v_mul_f64 v[229:230], v[121:122], s[46:47]
	scratch_store_b64 off, v[12:13], off offset:416 ; 8-byte Folded Spill
	v_fma_f64 v[12:13], v[123:124], s[22:23], -v[12:13]
	s_delay_alu instid0(VALU_DEP_1) | instskip(SKIP_3) | instid1(VALU_DEP_1)
	v_add_f64 v[10:11], v[12:13], v[10:11]
	v_mul_f64 v[12:13], v[247:248], s[48:49]
	scratch_store_b64 off, v[12:13], off offset:384 ; 8-byte Folded Spill
	v_fma_f64 v[12:13], v[119:120], s[16:17], v[12:13]
	v_add_f64 v[8:9], v[12:13], v[8:9]
	v_mul_f64 v[12:13], v[104:105], s[48:49]
	scratch_store_b64 off, v[12:13], off offset:488 ; 8-byte Folded Spill
	v_fma_f64 v[12:13], v[135:136], s[16:17], -v[12:13]
	s_delay_alu instid0(VALU_DEP_1) | instskip(SKIP_3) | instid1(VALU_DEP_1)
	v_add_f64 v[10:11], v[12:13], v[10:11]
	v_mul_f64 v[12:13], v[250:251], s[46:47]
	scratch_store_b64 off, v[12:13], off offset:480 ; 8-byte Folded Spill
	v_fma_f64 v[12:13], v[131:132], s[6:7], v[12:13]
	v_add_f64 v[8:9], v[12:13], v[8:9]
	;; [unrolled: 9-line block ×5, first 2 shown]
	v_mul_f64 v[12:13], v[129:130], s[38:39]
	scratch_store_b64 off, v[12:13], off offset:440 ; 8-byte Folded Spill
	v_fma_f64 v[12:13], v[163:164], s[20:21], -v[12:13]
	s_delay_alu instid0(VALU_DEP_1) | instskip(SKIP_1) | instid1(VALU_DEP_1)
	v_add_f64 v[10:11], v[12:13], v[10:11]
	v_fma_f64 v[12:13], v[127:128], s[14:15], v[254:255]
	v_add_f64 v[12:13], v[36:37], v[12:13]
	s_delay_alu instid0(VALU_DEP_1) | instskip(SKIP_1) | instid1(VALU_DEP_1)
	v_add_f64 v[12:13], v[14:15], v[12:13]
	v_fma_f64 v[14:15], v[167:168], s[14:15], -v[173:174]
	v_add_f64 v[14:15], v[38:39], v[14:15]
	s_delay_alu instid0(VALU_DEP_1) | instskip(SKIP_3) | instid1(VALU_DEP_1)
	v_add_f64 v[14:15], v[16:17], v[14:15]
	v_mul_f64 v[16:17], v[243:244], s[48:49]
	scratch_store_b64 off, v[16:17], off offset:400 ; 8-byte Folded Spill
	v_fma_f64 v[16:17], v[115:116], s[16:17], v[16:17]
	v_add_f64 v[12:13], v[16:17], v[12:13]
	v_mul_f64 v[16:17], v[245:246], s[48:49]
	scratch_store_b64 off, v[16:17], off offset:520 ; 8-byte Folded Spill
	v_fma_f64 v[16:17], v[123:124], s[16:17], -v[16:17]
	s_delay_alu instid0(VALU_DEP_1) | instskip(SKIP_3) | instid1(VALU_DEP_1)
	v_add_f64 v[14:15], v[16:17], v[14:15]
	v_mul_f64 v[16:17], v[247:248], s[44:45]
	scratch_store_b64 off, v[16:17], off offset:448 ; 8-byte Folded Spill
	v_fma_f64 v[16:17], v[119:120], s[4:5], v[16:17]
	v_add_f64 v[12:13], v[16:17], v[12:13]
	v_mul_f64 v[16:17], v[104:105], s[44:45]
	v_mul_f64 v[104:105], v[104:105], s[46:47]
	scratch_store_b64 off, v[16:17], off offset:584 ; 8-byte Folded Spill
	v_fma_f64 v[16:17], v[135:136], s[4:5], -v[16:17]
	s_delay_alu instid0(VALU_DEP_1) | instskip(SKIP_3) | instid1(VALU_DEP_1)
	v_add_f64 v[14:15], v[16:17], v[14:15]
	v_mul_f64 v[16:17], v[250:251], s[34:35]
	scratch_store_b64 off, v[16:17], off offset:536 ; 8-byte Folded Spill
	v_fma_f64 v[16:17], v[131:132], s[10:11], v[16:17]
	v_add_f64 v[12:13], v[16:17], v[12:13]
	v_mul_f64 v[16:17], v[252:253], s[34:35]
	scratch_store_b64 off, v[16:17], off offset:648 ; 8-byte Folded Spill
	v_fma_f64 v[16:17], v[143:144], s[10:11], -v[16:17]
	s_delay_alu instid0(VALU_DEP_1) | instskip(SKIP_3) | instid1(VALU_DEP_1)
	v_add_f64 v[14:15], v[16:17], v[14:15]
	v_mul_f64 v[16:17], v[108:109], s[38:39]
	scratch_store_b64 off, v[16:17], off offset:504 ; 8-byte Folded Spill
	v_fma_f64 v[16:17], v[139:140], s[20:21], v[16:17]
	v_add_f64 v[12:13], v[16:17], v[12:13]
	v_mul_f64 v[16:17], v[113:114], s[38:39]
	scratch_store_b64 off, v[16:17], off offset:560 ; 8-byte Folded Spill
	v_fma_f64 v[16:17], v[151:152], s[20:21], -v[16:17]
	s_delay_alu instid0(VALU_DEP_1) | instskip(SKIP_3) | instid1(VALU_DEP_1)
	v_add_f64 v[14:15], v[16:17], v[14:15]
	v_mul_f64 v[16:17], v[117:118], s[52:53]
	scratch_store_b64 off, v[16:17], off offset:512 ; 8-byte Folded Spill
	v_fma_f64 v[16:17], v[147:148], s[18:19], v[16:17]
	v_add_f64 v[12:13], v[16:17], v[12:13]
	v_mul_f64 v[16:17], v[121:122], s[52:53]
	scratch_store_b64 off, v[16:17], off offset:568 ; 8-byte Folded Spill
	v_fma_f64 v[16:17], v[159:160], s[18:19], -v[16:17]
	s_delay_alu instid0(VALU_DEP_1) | instskip(SKIP_3) | instid1(VALU_DEP_1)
	v_add_f64 v[14:15], v[16:17], v[14:15]
	v_mul_f64 v[16:17], v[125:126], s[46:47]
	scratch_store_b64 off, v[16:17], off offset:464 ; 8-byte Folded Spill
	v_fma_f64 v[16:17], v[155:156], s[6:7], v[16:17]
	v_add_f64 v[12:13], v[16:17], v[12:13]
	v_mul_f64 v[16:17], v[129:130], s[46:47]
	scratch_store_b64 off, v[16:17], off offset:544 ; 8-byte Folded Spill
	v_fma_f64 v[16:17], v[163:164], s[6:7], -v[16:17]
	s_delay_alu instid0(VALU_DEP_1) | instskip(SKIP_1) | instid1(VALU_DEP_1)
	v_add_f64 v[14:15], v[16:17], v[14:15]
	v_fma_f64 v[16:17], v[127:128], s[16:17], v[201:202]
	v_add_f64 v[16:17], v[36:37], v[16:17]
	s_delay_alu instid0(VALU_DEP_1) | instskip(SKIP_1) | instid1(VALU_DEP_1)
	v_add_f64 v[16:17], v[18:19], v[16:17]
	v_fma_f64 v[18:19], v[167:168], s[16:17], -v[205:206]
	v_add_f64 v[18:19], v[38:39], v[18:19]
	s_delay_alu instid0(VALU_DEP_1) | instskip(SKIP_3) | instid1(VALU_DEP_1)
	v_add_f64 v[18:19], v[20:21], v[18:19]
	v_mul_f64 v[20:21], v[243:244], s[46:47]
	scratch_store_b64 off, v[20:21], off offset:472 ; 8-byte Folded Spill
	v_fma_f64 v[20:21], v[115:116], s[6:7], v[20:21]
	v_add_f64 v[16:17], v[20:21], v[16:17]
	v_mul_f64 v[20:21], v[245:246], s[46:47]
	scratch_store_b64 off, v[20:21], off offset:600 ; 8-byte Folded Spill
	v_fma_f64 v[20:21], v[123:124], s[6:7], -v[20:21]
	s_delay_alu instid0(VALU_DEP_1) | instskip(SKIP_3) | instid1(SALU_CYCLE_1)
	v_add_f64 v[18:19], v[20:21], v[18:19]
	v_mul_f64 v[20:21], v[247:248], s[34:35]
	s_mov_b32 s35, 0x3fefdd0d
	s_mov_b32 s34, s28
	v_mul_f64 v[149:150], v[113:114], s[34:35]
	v_mul_f64 v[195:196], v[250:251], s[34:35]
	;; [unrolled: 1-line block ×4, first 2 shown]
	scratch_store_b64 off, v[20:21], off offset:552 ; 8-byte Folded Spill
	v_fma_f64 v[20:21], v[119:120], s[10:11], v[20:21]
	s_delay_alu instid0(VALU_DEP_1) | instskip(SKIP_1) | instid1(VALU_DEP_1)
	v_add_f64 v[16:17], v[20:21], v[16:17]
	v_fma_f64 v[20:21], v[135:136], s[10:11], -v[145:146]
	v_add_f64 v[18:19], v[20:21], v[18:19]
	v_mul_f64 v[20:21], v[250:251], s[40:41]
	scratch_store_b64 off, v[20:21], off offset:624 ; 8-byte Folded Spill
	v_fma_f64 v[20:21], v[131:132], s[22:23], v[20:21]
	s_delay_alu instid0(VALU_DEP_1) | instskip(SKIP_1) | instid1(VALU_DEP_1)
	v_add_f64 v[16:17], v[20:21], v[16:17]
	v_fma_f64 v[20:21], v[143:144], s[22:23], -v[153:154]
	v_add_f64 v[18:19], v[20:21], v[18:19]
	v_mul_f64 v[20:21], v[108:109], s[34:35]
	v_mul_f64 v[108:109], v[108:109], s[42:43]
	scratch_store_b64 off, v[20:21], off offset:616 ; 8-byte Folded Spill
	v_fma_f64 v[20:21], v[139:140], s[14:15], v[20:21]
	s_delay_alu instid0(VALU_DEP_1) | instskip(SKIP_1) | instid1(VALU_DEP_1)
	v_add_f64 v[16:17], v[20:21], v[16:17]
	v_fma_f64 v[20:21], v[151:152], s[14:15], -v[149:150]
	v_add_f64 v[18:19], v[20:21], v[18:19]
	v_mul_f64 v[20:21], v[117:118], s[24:25]
	v_mul_f64 v[117:118], v[117:118], s[30:31]
	scratch_store_b64 off, v[20:21], off offset:592 ; 8-byte Folded Spill
	v_fma_f64 v[20:21], v[147:148], s[4:5], v[20:21]
	s_delay_alu instid0(VALU_DEP_1) | instskip(SKIP_4) | instid1(VALU_DEP_1)
	v_add_f64 v[16:17], v[20:21], v[16:17]
	v_mul_f64 v[20:21], v[121:122], s[24:25]
	v_mul_f64 v[121:122], v[121:122], s[30:31]
	scratch_store_b64 off, v[20:21], off offset:640 ; 8-byte Folded Spill
	v_fma_f64 v[20:21], v[159:160], s[4:5], -v[20:21]
	v_add_f64 v[18:19], v[20:21], v[18:19]
	v_mul_f64 v[20:21], v[125:126], s[36:37]
	scratch_store_b64 off, v[20:21], off offset:576 ; 8-byte Folded Spill
	v_fma_f64 v[20:21], v[155:156], s[18:19], v[20:21]
	s_delay_alu instid0(VALU_DEP_1)
	v_add_f64 v[16:17], v[20:21], v[16:17]
	v_mul_f64 v[20:21], v[129:130], s[36:37]
	scratch_store_b64 off, v[20:21], off offset:632 ; 8-byte Folded Spill
	v_fma_f64 v[20:21], v[163:164], s[18:19], -v[20:21]
	s_waitcnt lgkmcnt(0)
	s_waitcnt_vscnt null, 0x0
	s_barrier
	buffer_gl0_inv
	v_add_f64 v[18:19], v[20:21], v[18:19]
	v_fma_f64 v[20:21], v[127:128], s[18:19], v[207:208]
	s_delay_alu instid0(VALU_DEP_1) | instskip(NEXT) | instid1(VALU_DEP_1)
	v_add_f64 v[20:21], v[36:37], v[20:21]
	v_add_f64 v[20:21], v[22:23], v[20:21]
	v_fma_f64 v[22:23], v[167:168], s[18:19], -v[211:212]
	s_delay_alu instid0(VALU_DEP_1) | instskip(NEXT) | instid1(VALU_DEP_1)
	v_add_f64 v[22:23], v[38:39], v[22:23]
	v_add_f64 v[22:23], v[24:25], v[22:23]
	v_fma_f64 v[24:25], v[115:116], s[4:5], v[177:178]
	s_delay_alu instid0(VALU_DEP_1) | instskip(SKIP_1) | instid1(VALU_DEP_1)
	v_add_f64 v[20:21], v[24:25], v[20:21]
	v_fma_f64 v[24:25], v[123:124], s[4:5], -v[189:190]
	v_add_f64 v[22:23], v[24:25], v[22:23]
	v_fma_f64 v[24:25], v[119:120], s[20:21], v[183:184]
	s_delay_alu instid0(VALU_DEP_1) | instskip(SKIP_1) | instid1(VALU_DEP_1)
	v_add_f64 v[20:21], v[24:25], v[20:21]
	v_fma_f64 v[24:25], v[135:136], s[20:21], -v[199:200]
	;; [unrolled: 5-line block ×6, first 2 shown]
	v_add_f64 v[22:23], v[24:25], v[22:23]
	v_fma_f64 v[24:25], v[127:128], s[20:21], v[239:240]
	s_delay_alu instid0(VALU_DEP_1) | instskip(NEXT) | instid1(VALU_DEP_1)
	v_add_f64 v[24:25], v[36:37], v[24:25]
	v_add_f64 v[24:25], v[26:27], v[24:25]
	v_fma_f64 v[26:27], v[167:168], s[20:21], -v[241:242]
	s_delay_alu instid0(VALU_DEP_1) | instskip(NEXT) | instid1(VALU_DEP_1)
	v_add_f64 v[26:27], v[38:39], v[26:27]
	v_add_f64 v[26:27], v[213:214], v[26:27]
	v_mul_f64 v[213:214], v[243:244], s[28:29]
	s_delay_alu instid0(VALU_DEP_1) | instskip(NEXT) | instid1(VALU_DEP_1)
	v_fma_f64 v[215:216], v[115:116], s[14:15], v[213:214]
	v_add_f64 v[24:25], v[215:216], v[24:25]
	v_fma_f64 v[215:216], v[123:124], s[14:15], -v[223:224]
	s_delay_alu instid0(VALU_DEP_1) | instskip(SKIP_1) | instid1(VALU_DEP_1)
	v_add_f64 v[26:27], v[215:216], v[26:27]
	v_mul_f64 v[215:216], v[247:248], s[52:53]
	v_fma_f64 v[219:220], v[119:120], s[18:19], v[215:216]
	s_delay_alu instid0(VALU_DEP_1) | instskip(SKIP_1) | instid1(VALU_DEP_1)
	v_add_f64 v[24:25], v[219:220], v[24:25]
	v_fma_f64 v[219:220], v[135:136], s[18:19], -v[231:232]
	v_add_f64 v[26:27], v[219:220], v[26:27]
	v_fma_f64 v[219:220], v[131:132], s[4:5], v[225:226]
	s_delay_alu instid0(VALU_DEP_1) | instskip(SKIP_1) | instid1(VALU_DEP_1)
	v_add_f64 v[24:25], v[219:220], v[24:25]
	v_fma_f64 v[219:220], v[143:144], s[4:5], -v[235:236]
	v_add_f64 v[26:27], v[219:220], v[26:27]
	;; [unrolled: 5-line block ×4, first 2 shown]
	v_mul_f64 v[219:220], v[125:126], s[30:31]
	v_mul_f64 v[125:126], v[125:126], s[34:35]
	s_delay_alu instid0(VALU_DEP_2) | instskip(NEXT) | instid1(VALU_DEP_1)
	v_fma_f64 v[227:228], v[155:156], s[16:17], v[219:220]
	v_add_f64 v[24:25], v[227:228], v[24:25]
	v_mul_f64 v[227:228], v[129:130], s[30:31]
	v_mul_f64 v[129:130], v[129:130], s[34:35]
	s_delay_alu instid0(VALU_DEP_2) | instskip(NEXT) | instid1(VALU_DEP_1)
	v_fma_f64 v[133:134], v[163:164], s[16:17], -v[227:228]
	v_add_f64 v[26:27], v[133:134], v[26:27]
	v_mul_f64 v[133:134], v[28:29], s[40:41]
	s_delay_alu instid0(VALU_DEP_1) | instskip(SKIP_1) | instid1(VALU_DEP_2)
	v_fma_f64 v[28:29], v[127:128], s[22:23], -v[133:134]
	v_fma_f64 v[133:134], v[127:128], s[22:23], v[133:134]
	v_add_f64 v[28:29], v[36:37], v[28:29]
	s_delay_alu instid0(VALU_DEP_2) | instskip(NEXT) | instid1(VALU_DEP_2)
	v_add_f64 v[133:134], v[36:37], v[133:134]
	v_add_f64 v[28:29], v[30:31], v[28:29]
	v_fma_f64 v[30:31], v[167:168], s[22:23], v[32:33]
	v_fma_f64 v[32:33], v[167:168], s[22:23], -v[32:33]
	s_delay_alu instid0(VALU_DEP_4) | instskip(NEXT) | instid1(VALU_DEP_3)
	v_add_f64 v[133:134], v[137:138], v[133:134]
	v_add_f64 v[30:31], v[38:39], v[30:31]
	s_delay_alu instid0(VALU_DEP_3) | instskip(NEXT) | instid1(VALU_DEP_2)
	v_add_f64 v[32:33], v[38:39], v[32:33]
	v_add_f64 v[30:31], v[141:142], v[30:31]
	v_mul_f64 v[141:142], v[243:244], s[38:39]
	s_delay_alu instid0(VALU_DEP_3) | instskip(NEXT) | instid1(VALU_DEP_2)
	v_add_f64 v[32:33], v[34:35], v[32:33]
	v_fma_f64 v[243:244], v[115:116], s[20:21], -v[141:142]
	v_fma_f64 v[34:35], v[115:116], s[20:21], v[141:142]
	s_delay_alu instid0(VALU_DEP_2) | instskip(SKIP_1) | instid1(VALU_DEP_3)
	v_add_f64 v[28:29], v[243:244], v[28:29]
	v_mul_f64 v[243:244], v[245:246], s[38:39]
	v_add_f64 v[34:35], v[34:35], v[133:134]
	s_delay_alu instid0(VALU_DEP_2) | instskip(SKIP_2) | instid1(VALU_DEP_3)
	v_fma_f64 v[245:246], v[123:124], s[20:21], v[243:244]
	v_fma_f64 v[133:134], v[123:124], s[20:21], -v[243:244]
	v_mul_lo_u16 v243, v171, 17
	v_add_f64 v[30:31], v[245:246], v[30:31]
	v_mul_f64 v[245:246], v[247:248], s[46:47]
	s_delay_alu instid0(VALU_DEP_4) | instskip(NEXT) | instid1(VALU_DEP_2)
	v_add_f64 v[32:33], v[133:134], v[32:33]
	v_fma_f64 v[247:248], v[119:120], s[6:7], -v[245:246]
	v_fma_f64 v[133:134], v[119:120], s[6:7], v[245:246]
	s_delay_alu instid0(VALU_DEP_2) | instskip(SKIP_2) | instid1(VALU_DEP_4)
	v_add_f64 v[28:29], v[247:248], v[28:29]
	v_fma_f64 v[247:248], v[135:136], s[6:7], v[104:105]
	v_fma_f64 v[104:105], v[135:136], s[6:7], -v[104:105]
	v_add_f64 v[34:35], v[133:134], v[34:35]
	s_delay_alu instid0(VALU_DEP_3) | instskip(SKIP_1) | instid1(VALU_DEP_4)
	v_add_f64 v[30:31], v[247:248], v[30:31]
	v_mul_f64 v[247:248], v[250:251], s[36:37]
	v_add_f64 v[32:33], v[104:105], v[32:33]
	s_delay_alu instid0(VALU_DEP_2) | instskip(SKIP_1) | instid1(VALU_DEP_2)
	v_fma_f64 v[250:251], v[131:132], s[18:19], -v[247:248]
	v_fma_f64 v[104:105], v[131:132], s[18:19], v[247:248]
	v_add_f64 v[28:29], v[250:251], v[28:29]
	v_mul_f64 v[250:251], v[252:253], s[36:37]
	s_delay_alu instid0(VALU_DEP_3) | instskip(NEXT) | instid1(VALU_DEP_2)
	v_add_f64 v[34:35], v[104:105], v[34:35]
	v_fma_f64 v[252:253], v[143:144], s[18:19], v[250:251]
	v_fma_f64 v[104:105], v[143:144], s[18:19], -v[250:251]
	s_delay_alu instid0(VALU_DEP_2) | instskip(SKIP_1) | instid1(VALU_DEP_3)
	v_add_f64 v[30:31], v[252:253], v[30:31]
	v_fma_f64 v[252:253], v[139:140], s[10:11], -v[108:109]
	v_add_f64 v[32:33], v[104:105], v[32:33]
	v_fma_f64 v[104:105], v[139:140], s[10:11], v[108:109]
	v_fma_f64 v[108:109], v[163:164], s[14:15], -v[129:130]
	s_delay_alu instid0(VALU_DEP_4) | instskip(SKIP_1) | instid1(VALU_DEP_4)
	v_add_f64 v[28:29], v[252:253], v[28:29]
	v_fma_f64 v[252:253], v[151:152], s[10:11], v[113:114]
	v_add_f64 v[34:35], v[104:105], v[34:35]
	v_fma_f64 v[104:105], v[151:152], s[10:11], -v[113:114]
	s_delay_alu instid0(VALU_DEP_3) | instskip(SKIP_1) | instid1(VALU_DEP_3)
	v_add_f64 v[30:31], v[252:253], v[30:31]
	v_fma_f64 v[252:253], v[147:148], s[16:17], -v[117:118]
	v_add_f64 v[32:33], v[104:105], v[32:33]
	v_fma_f64 v[104:105], v[147:148], s[16:17], v[117:118]
	s_delay_alu instid0(VALU_DEP_3) | instskip(SKIP_1) | instid1(VALU_DEP_3)
	v_add_f64 v[28:29], v[252:253], v[28:29]
	v_fma_f64 v[252:253], v[159:160], s[16:17], v[121:122]
	v_add_f64 v[34:35], v[104:105], v[34:35]
	v_fma_f64 v[104:105], v[159:160], s[16:17], -v[121:122]
	s_delay_alu instid0(VALU_DEP_3) | instskip(SKIP_1) | instid1(VALU_DEP_3)
	v_add_f64 v[30:31], v[252:253], v[30:31]
	v_fma_f64 v[252:253], v[155:156], s[14:15], -v[125:126]
	v_add_f64 v[104:105], v[104:105], v[32:33]
	v_fma_f64 v[32:33], v[155:156], s[14:15], v[125:126]
	s_delay_alu instid0(VALU_DEP_3) | instskip(SKIP_1) | instid1(VALU_DEP_3)
	v_add_f64 v[28:29], v[252:253], v[28:29]
	v_fma_f64 v[252:253], v[163:164], s[14:15], v[129:130]
	v_add_f64 v[32:33], v[32:33], v[34:35]
	v_add_f64 v[34:35], v[108:109], v[104:105]
	s_delay_alu instid0(VALU_DEP_3)
	v_add_f64 v[30:31], v[252:253], v[30:31]
	s_and_saveexec_b32 s24, vcc_lo
	s_cbranch_execz .LBB0_7
; %bb.6:
	v_add_f64 v[62:63], v[38:39], v[62:63]
	v_add_f64 v[60:61], v[36:37], v[60:61]
	s_delay_alu instid0(VALU_DEP_2) | instskip(NEXT) | instid1(VALU_DEP_2)
	v_add_f64 v[58:59], v[58:59], v[62:63]
	v_add_f64 v[56:57], v[56:57], v[60:61]
	v_mul_f64 v[62:63], v[127:128], s[10:11]
	v_mul_f64 v[60:61], v[167:168], s[10:11]
	s_delay_alu instid0(VALU_DEP_4) | instskip(NEXT) | instid1(VALU_DEP_4)
	v_add_f64 v[58:59], v[70:71], v[58:59]
	v_add_f64 v[56:57], v[68:69], v[56:57]
	scratch_load_b64 v[70:71], off, off offset:224 ; 8-byte Folded Reload
	v_mul_f64 v[68:69], v[167:168], s[4:5]
	v_add_f64 v[62:63], v[62:63], -v[165:166]
	v_add_f64 v[60:61], v[169:170], v[60:61]
	v_add_f64 v[58:59], v[74:75], v[58:59]
	;; [unrolled: 1-line block ×3, first 2 shown]
	s_delay_alu instid0(VALU_DEP_2) | instskip(NEXT) | instid1(VALU_DEP_2)
	v_add_f64 v[58:59], v[66:67], v[58:59]
	v_add_f64 v[56:57], v[64:65], v[56:57]
	v_mul_f64 v[66:67], v[127:128], s[6:7]
	v_mul_f64 v[64:65], v[167:168], s[6:7]
	s_delay_alu instid0(VALU_DEP_4)
	v_add_f64 v[58:59], v[82:83], v[58:59]
	v_mul_f64 v[82:83], v[106:107], s[10:11]
	v_add_f64 v[56:57], v[80:81], v[56:57]
	v_add_f64 v[66:67], v[66:67], -v[157:158]
	v_add_f64 v[64:65], v[161:162], v[64:65]
	v_mul_f64 v[80:81], v[131:132], s[4:5]
	v_add_f64 v[58:59], v[78:79], v[58:59]
	v_add_f64 v[82:83], v[82:83], -v[209:210]
	v_add_f64 v[56:57], v[76:77], v[56:57]
	v_mul_f64 v[76:77], v[110:111], s[10:11]
	v_mul_f64 v[78:79], v[139:140], s[22:23]
	v_add_f64 v[80:81], v[80:81], -v[225:226]
	v_add_f64 v[58:59], v[86:87], v[58:59]
	scratch_load_b64 v[86:87], off, off offset:352 ; 8-byte Folded Reload
	v_add_f64 v[56:57], v[84:85], v[56:57]
	v_add_f64 v[76:77], v[217:218], v[76:77]
	v_mul_f64 v[84:85], v[115:116], s[14:15]
	v_add_f64 v[78:79], v[78:79], -v[233:234]
	v_add_f64 v[58:59], v[94:95], v[58:59]
	v_add_f64 v[56:57], v[92:93], v[56:57]
	s_delay_alu instid0(VALU_DEP_4) | instskip(NEXT) | instid1(VALU_DEP_3)
	v_add_f64 v[84:85], v[84:85], -v[213:214]
	v_add_f64 v[58:59], v[98:99], v[58:59]
	s_delay_alu instid0(VALU_DEP_3) | instskip(NEXT) | instid1(VALU_DEP_2)
	v_add_f64 v[56:57], v[96:97], v[56:57]
	v_add_f64 v[58:59], v[102:103], v[58:59]
	s_delay_alu instid0(VALU_DEP_2) | instskip(NEXT) | instid1(VALU_DEP_2)
	v_add_f64 v[56:57], v[100:101], v[56:57]
	v_add_f64 v[58:59], v[90:91], v[58:59]
	s_delay_alu instid0(VALU_DEP_2) | instskip(NEXT) | instid1(VALU_DEP_2)
	v_add_f64 v[56:57], v[88:89], v[56:57]
	v_add_f64 v[54:55], v[54:55], v[58:59]
	v_mul_f64 v[58:59], v[127:128], s[14:15]
	s_delay_alu instid0(VALU_DEP_3) | instskip(SKIP_1) | instid1(VALU_DEP_4)
	v_add_f64 v[52:53], v[52:53], v[56:57]
	v_mul_f64 v[56:57], v[167:168], s[14:15]
	v_add_f64 v[50:51], v[50:51], v[54:55]
	v_mul_f64 v[54:55], v[127:128], s[16:17]
	s_delay_alu instid0(VALU_DEP_4)
	v_add_f64 v[48:49], v[48:49], v[52:53]
	v_mul_f64 v[52:53], v[167:168], s[16:17]
	v_add_f64 v[56:57], v[173:174], v[56:57]
	v_add_f64 v[58:59], v[58:59], -v[254:255]
	v_add_f64 v[46:47], v[46:47], v[50:51]
	v_mul_f64 v[50:51], v[127:128], s[18:19]
	v_add_f64 v[44:45], v[44:45], v[48:49]
	v_add_f64 v[54:55], v[54:55], -v[201:202]
	v_mul_f64 v[48:49], v[167:168], s[18:19]
	v_add_f64 v[52:53], v[205:206], v[52:53]
	v_add_f64 v[56:57], v[38:39], v[56:57]
	;; [unrolled: 1-line block ×4, first 2 shown]
	v_mul_f64 v[46:47], v[127:128], s[20:21]
	v_add_f64 v[50:51], v[50:51], -v[207:208]
	v_add_f64 v[40:41], v[40:41], v[44:45]
	v_mul_f64 v[44:45], v[167:168], s[20:21]
	v_add_f64 v[74:75], v[36:37], v[54:55]
	v_add_f64 v[54:55], v[36:37], v[62:63]
	;; [unrolled: 1-line block ×4, first 2 shown]
	v_add_f64 v[46:47], v[46:47], -v[239:240]
	v_add_f64 v[50:51], v[36:37], v[50:51]
	v_add_f64 v[44:45], v[241:242], v[44:45]
	s_delay_alu instid0(VALU_DEP_4) | instskip(NEXT) | instid1(VALU_DEP_4)
	v_add_f64 v[48:49], v[38:39], v[48:49]
	v_add_f64 v[46:47], v[36:37], v[46:47]
	s_delay_alu instid0(VALU_DEP_3) | instskip(NEXT) | instid1(VALU_DEP_2)
	v_add_f64 v[44:45], v[38:39], v[44:45]
	v_add_f64 v[46:47], v[82:83], v[46:47]
	v_mul_f64 v[82:83], v[106:107], s[16:17]
	s_delay_alu instid0(VALU_DEP_3) | instskip(SKIP_1) | instid1(VALU_DEP_4)
	v_add_f64 v[44:45], v[76:77], v[44:45]
	v_mul_f64 v[76:77], v[119:120], s[18:19]
	v_add_f64 v[46:47], v[84:85], v[46:47]
	s_delay_alu instid0(VALU_DEP_4) | instskip(SKIP_1) | instid1(VALU_DEP_4)
	v_add_f64 v[82:83], v[82:83], -v[175:176]
	v_mul_f64 v[84:85], v[151:152], s[6:7]
	v_add_f64 v[76:77], v[76:77], -v[215:216]
	s_delay_alu instid0(VALU_DEP_3)
	v_add_f64 v[50:51], v[82:83], v[50:51]
	s_clause 0x1
	scratch_load_b64 v[82:83], off, off offset:328
	scratch_load_b64 v[72:73], off, off offset:128
	s_waitcnt vmcnt(3)
	v_add_f64 v[68:69], v[70:71], v[68:69]
	v_mul_f64 v[70:71], v[127:128], s[4:5]
	v_add_f64 v[46:47], v[76:77], v[46:47]
	v_mul_f64 v[76:77], v[131:132], s[14:15]
	v_add_f64 v[84:85], v[197:198], v[84:85]
	s_delay_alu instid0(VALU_DEP_2)
	v_add_f64 v[76:77], v[76:77], -v[195:196]
	s_waitcnt vmcnt(0)
	v_add_f64 v[70:71], v[70:71], -v[72:73]
	v_add_f64 v[72:73], v[38:39], v[52:53]
	v_add_f64 v[52:53], v[38:39], v[60:61]
	;; [unrolled: 1-line block ×4, first 2 shown]
	v_mul_f64 v[68:69], v[135:136], s[18:19]
	v_mul_f64 v[38:39], v[143:144], s[4:5]
	v_add_f64 v[66:67], v[36:37], v[70:71]
	v_mul_f64 v[70:71], v[123:124], s[14:15]
	v_mul_f64 v[36:37], v[151:152], s[22:23]
	v_add_f64 v[68:69], v[231:232], v[68:69]
	v_add_f64 v[38:39], v[235:236], v[38:39]
	s_delay_alu instid0(VALU_DEP_4) | instskip(NEXT) | instid1(VALU_DEP_4)
	v_add_f64 v[70:71], v[223:224], v[70:71]
	v_add_f64 v[36:37], v[237:238], v[36:37]
	s_delay_alu instid0(VALU_DEP_2) | instskip(SKIP_1) | instid1(VALU_DEP_2)
	v_add_f64 v[44:45], v[70:71], v[44:45]
	v_mul_f64 v[70:71], v[159:160], s[6:7]
	v_add_f64 v[44:45], v[68:69], v[44:45]
	v_mul_f64 v[68:69], v[147:148], s[6:7]
	s_delay_alu instid0(VALU_DEP_3) | instskip(NEXT) | instid1(VALU_DEP_3)
	v_add_f64 v[70:71], v[229:230], v[70:71]
	v_add_f64 v[38:39], v[38:39], v[44:45]
	;; [unrolled: 1-line block ×3, first 2 shown]
	s_delay_alu instid0(VALU_DEP_4)
	v_add_f64 v[68:69], v[68:69], -v[221:222]
	v_mul_f64 v[46:47], v[163:164], s[16:17]
	v_mul_f64 v[80:81], v[115:116], s[4:5]
	v_add_f64 v[36:37], v[36:37], v[38:39]
	v_add_f64 v[38:39], v[78:79], v[44:45]
	v_mul_f64 v[44:45], v[155:156], s[16:17]
	v_add_f64 v[46:47], v[227:228], v[46:47]
	v_mul_f64 v[78:79], v[119:120], s[20:21]
	v_add_f64 v[80:81], v[80:81], -v[177:178]
	v_add_f64 v[36:37], v[70:71], v[36:37]
	v_add_f64 v[68:69], v[68:69], v[38:39]
	v_add_f64 v[44:45], v[44:45], -v[219:220]
	v_mul_f64 v[70:71], v[110:111], s[16:17]
	v_add_f64 v[78:79], v[78:79], -v[183:184]
	v_add_f64 v[50:51], v[80:81], v[50:51]
	v_add_f64 v[38:39], v[46:47], v[36:37]
	v_mul_f64 v[46:47], v[135:136], s[20:21]
	v_add_f64 v[36:37], v[44:45], v[68:69]
	v_mul_f64 v[68:69], v[123:124], s[4:5]
	;; [unrolled: 2-line block ×3, first 2 shown]
	v_add_f64 v[46:47], v[199:200], v[46:47]
	s_delay_alu instid0(VALU_DEP_4) | instskip(NEXT) | instid1(VALU_DEP_4)
	v_add_f64 v[68:69], v[189:190], v[68:69]
	v_add_f64 v[48:49], v[70:71], v[48:49]
	s_delay_alu instid0(VALU_DEP_4) | instskip(SKIP_1) | instid1(VALU_DEP_3)
	v_add_f64 v[44:45], v[203:204], v[44:45]
	v_mul_f64 v[70:71], v[139:140], s[6:7]
	v_add_f64 v[48:49], v[68:69], v[48:49]
	v_mul_f64 v[68:69], v[159:160], s[22:23]
	s_delay_alu instid0(VALU_DEP_3) | instskip(NEXT) | instid1(VALU_DEP_3)
	v_add_f64 v[70:71], v[70:71], -v[187:188]
	v_add_f64 v[46:47], v[46:47], v[48:49]
	v_add_f64 v[48:49], v[78:79], v[50:51]
	v_mul_f64 v[50:51], v[147:148], s[22:23]
	v_add_f64 v[68:69], v[193:194], v[68:69]
	s_clause 0x1
	scratch_load_b64 v[78:79], off, off offset:248
	scratch_load_b64 v[80:81], off, off offset:232
	v_add_f64 v[44:45], v[44:45], v[46:47]
	v_add_f64 v[46:47], v[76:77], v[48:49]
	v_add_f64 v[50:51], v[50:51], -v[185:186]
	v_mul_f64 v[48:49], v[163:164], s[10:11]
	scratch_load_b64 v[76:77], off, off offset:264 ; 8-byte Folded Reload
	v_add_f64 v[44:45], v[84:85], v[44:45]
	v_add_f64 v[46:47], v[70:71], v[46:47]
	v_mul_f64 v[70:71], v[155:156], s[10:11]
	v_add_f64 v[48:49], v[191:192], v[48:49]
	scratch_load_b64 v[84:85], off, off offset:272 ; 8-byte Folded Reload
	v_add_f64 v[44:45], v[68:69], v[44:45]
	v_add_f64 v[50:51], v[50:51], v[46:47]
	v_add_f64 v[70:71], v[70:71], -v[181:182]
	scratch_load_b64 v[68:69], off, off offset:280 ; 8-byte Folded Reload
	v_add_f64 v[46:47], v[48:49], v[44:45]
	v_mul_f64 v[48:49], v[135:136], s[22:23]
	v_add_f64 v[44:45], v[70:71], v[50:51]
	s_clause 0x1
	scratch_load_b64 v[50:51], off, off offset:344
	scratch_load_b64 v[70:71], off, off offset:240
	s_waitcnt vmcnt(1)
	v_add_f64 v[48:49], v[50:51], v[48:49]
	v_mul_f64 v[50:51], v[123:124], s[18:19]
	s_delay_alu instid0(VALU_DEP_1) | instskip(SKIP_2) | instid1(VALU_DEP_1)
	v_add_f64 v[50:51], v[68:69], v[50:51]
	v_mul_f64 v[68:69], v[110:111], s[14:15]
	s_waitcnt vmcnt(0)
	v_add_f64 v[68:69], v[70:71], v[68:69]
	v_mul_f64 v[70:71], v[119:120], s[22:23]
	s_delay_alu instid0(VALU_DEP_2) | instskip(NEXT) | instid1(VALU_DEP_2)
	v_add_f64 v[60:61], v[68:69], v[60:61]
	v_add_f64 v[70:71], v[70:71], -v[76:77]
	v_mul_f64 v[76:77], v[115:116], s[18:19]
	v_mul_f64 v[68:69], v[139:140], s[16:17]
	s_delay_alu instid0(VALU_DEP_4) | instskip(NEXT) | instid1(VALU_DEP_3)
	v_add_f64 v[50:51], v[50:51], v[60:61]
	v_add_f64 v[76:77], v[76:77], -v[78:79]
	v_mul_f64 v[78:79], v[106:107], s[14:15]
	s_delay_alu instid0(VALU_DEP_3) | instskip(NEXT) | instid1(VALU_DEP_2)
	v_add_f64 v[48:49], v[48:49], v[50:51]
	v_add_f64 v[78:79], v[78:79], -v[80:81]
	v_mul_f64 v[80:81], v[143:144], s[20:21]
	s_delay_alu instid0(VALU_DEP_2)
	v_add_f64 v[62:63], v[78:79], v[62:63]
	scratch_load_b64 v[78:79], off, off offset:288 ; 8-byte Folded Reload
	v_add_f64 v[80:81], v[82:83], v[80:81]
	v_mul_f64 v[82:83], v[131:132], s[20:21]
	v_add_f64 v[60:61], v[76:77], v[62:63]
	scratch_load_b64 v[76:77], off, off offset:360 ; 8-byte Folded Reload
	v_mul_f64 v[62:63], v[159:160], s[10:11]
	v_add_f64 v[82:83], v[82:83], -v[84:85]
	v_mul_f64 v[84:85], v[151:152], s[16:17]
	v_add_f64 v[48:49], v[80:81], v[48:49]
	v_add_f64 v[50:51], v[70:71], v[60:61]
	scratch_load_b64 v[70:71], off, off offset:296 ; 8-byte Folded Reload
	v_mul_f64 v[60:61], v[147:148], s[10:11]
	v_add_f64 v[50:51], v[82:83], v[50:51]
	scratch_load_b64 v[82:83], off, off offset:320 ; 8-byte Folded Reload
	s_waitcnt vmcnt(2)
	v_add_f64 v[62:63], v[76:77], v[62:63]
	scratch_load_b64 v[76:77], off, off offset:368 ; 8-byte Folded Reload
	s_waitcnt vmcnt(2)
	v_add_f64 v[60:61], v[60:61], -v[70:71]
	v_mul_f64 v[70:71], v[163:164], s[4:5]
	s_waitcnt vmcnt(0)
	s_delay_alu instid0(VALU_DEP_1)
	v_add_f64 v[70:71], v[76:77], v[70:71]
	scratch_load_b64 v[76:77], off, off offset:304 ; 8-byte Folded Reload
	v_add_f64 v[84:85], v[86:87], v[84:85]
	scratch_load_b64 v[86:87], off, off offset:496 ; 8-byte Folded Reload
	;; [unrolled: 2-line block ×3, first 2 shown]
	v_add_f64 v[68:69], v[68:69], -v[78:79]
	s_clause 0x1
	scratch_load_b64 v[78:79], off, off offset:480
	scratch_load_b64 v[80:81], off, off offset:384
	v_add_f64 v[48:49], v[62:63], v[48:49]
	scratch_load_b64 v[62:63], off, off offset:608 ; 8-byte Folded Reload
	v_add_f64 v[50:51], v[68:69], v[50:51]
	v_mul_f64 v[68:69], v[155:156], s[4:5]
	s_delay_alu instid0(VALU_DEP_2)
	v_add_f64 v[60:61], v[60:61], v[50:51]
	v_add_f64 v[50:51], v[70:71], v[48:49]
	scratch_load_b64 v[70:71], off, off offset:416 ; 8-byte Folded Reload
	s_waitcnt vmcnt(6)
	v_add_f64 v[68:69], v[68:69], -v[76:77]
	scratch_load_b64 v[76:77], off, off offset:336 ; 8-byte Folded Reload
	v_add_f64 v[48:49], v[68:69], v[60:61]
	scratch_load_b64 v[68:69], off, off offset:488 ; 8-byte Folded Reload
	v_mul_f64 v[60:61], v[143:144], s[6:7]
	s_waitcnt vmcnt(3)
	s_delay_alu instid0(VALU_DEP_1) | instskip(SKIP_2) | instid1(VALU_DEP_1)
	v_add_f64 v[60:61], v[62:63], v[60:61]
	v_mul_f64 v[62:63], v[135:136], s[16:17]
	s_waitcnt vmcnt(0)
	v_add_f64 v[62:63], v[68:69], v[62:63]
	v_mul_f64 v[68:69], v[123:124], s[22:23]
	s_delay_alu instid0(VALU_DEP_1) | instskip(SKIP_1) | instid1(VALU_DEP_1)
	v_add_f64 v[68:69], v[70:71], v[68:69]
	v_mul_f64 v[70:71], v[110:111], s[18:19]
	v_add_f64 v[70:71], v[76:77], v[70:71]
	v_mul_f64 v[76:77], v[131:132], s[6:7]
	s_delay_alu instid0(VALU_DEP_2) | instskip(NEXT) | instid1(VALU_DEP_2)
	v_add_f64 v[52:53], v[70:71], v[52:53]
	v_add_f64 v[76:77], v[76:77], -v[78:79]
	v_mul_f64 v[78:79], v[119:120], s[16:17]
	v_mul_f64 v[70:71], v[139:140], s[4:5]
	s_delay_alu instid0(VALU_DEP_4) | instskip(SKIP_1) | instid1(VALU_DEP_4)
	v_add_f64 v[52:53], v[68:69], v[52:53]
	v_mul_f64 v[68:69], v[159:160], s[14:15]
	v_add_f64 v[78:79], v[78:79], -v[80:81]
	v_mul_f64 v[80:81], v[115:116], s[22:23]
	s_delay_alu instid0(VALU_DEP_4) | instskip(SKIP_1) | instid1(VALU_DEP_3)
	v_add_f64 v[52:53], v[62:63], v[52:53]
	v_mul_f64 v[62:63], v[147:148], s[14:15]
	v_add_f64 v[80:81], v[80:81], -v[82:83]
	v_mul_f64 v[82:83], v[106:107], s[18:19]
	s_delay_alu instid0(VALU_DEP_4) | instskip(SKIP_1) | instid1(VALU_DEP_3)
	v_add_f64 v[52:53], v[60:61], v[52:53]
	v_mul_f64 v[60:61], v[163:164], s[20:21]
	v_add_f64 v[82:83], v[82:83], -v[84:85]
	v_mul_f64 v[84:85], v[151:152], s[4:5]
	s_delay_alu instid0(VALU_DEP_2)
	v_add_f64 v[54:55], v[82:83], v[54:55]
	scratch_load_b64 v[82:83], off, off offset:432 ; 8-byte Folded Reload
	v_add_f64 v[54:55], v[80:81], v[54:55]
	scratch_load_b64 v[80:81], off, off offset:456 ; 8-byte Folded Reload
	;; [unrolled: 2-line block ×4, first 2 shown]
	v_add_f64 v[52:53], v[84:85], v[52:53]
	v_add_f64 v[54:55], v[76:77], v[54:55]
	scratch_load_b64 v[76:77], off, off offset:440 ; 8-byte Folded Reload
	s_waitcnt vmcnt(4)
	v_add_f64 v[70:71], v[70:71], -v[82:83]
	s_clause 0x1
	scratch_load_b64 v[82:83], off, off offset:400
	scratch_load_b64 v[84:85], off, off offset:312
	s_waitcnt vmcnt(5)
	v_add_f64 v[68:69], v[80:81], v[68:69]
	v_add_f64 v[54:55], v[70:71], v[54:55]
	v_mul_f64 v[70:71], v[155:156], s[20:21]
	s_waitcnt vmcnt(3)
	v_add_f64 v[62:63], v[62:63], -v[78:79]
	s_delay_alu instid0(VALU_DEP_4)
	v_add_f64 v[52:53], v[68:69], v[52:53]
	s_clause 0x2
	scratch_load_b64 v[68:69], off, off offset:584
	scratch_load_b64 v[78:79], off, off offset:536
	;; [unrolled: 1-line block ×3, first 2 shown]
	s_waitcnt vmcnt(5)
	v_add_f64 v[60:61], v[76:77], v[60:61]
	scratch_load_b64 v[76:77], off, off offset:392 ; 8-byte Folded Reload
	v_add_f64 v[62:63], v[62:63], v[54:55]
	v_add_f64 v[54:55], v[60:61], v[52:53]
	v_mul_f64 v[60:61], v[143:144], s[10:11]
	s_waitcnt vmcnt(0)
	v_add_f64 v[70:71], v[70:71], -v[76:77]
	scratch_load_b64 v[76:77], off, off offset:424 ; 8-byte Folded Reload
	v_add_f64 v[52:53], v[70:71], v[62:63]
	s_clause 0x1
	scratch_load_b64 v[62:63], off, off offset:648
	scratch_load_b64 v[70:71], off, off offset:520
	s_waitcnt vmcnt(1)
	v_add_f64 v[60:61], v[62:63], v[60:61]
	v_mul_f64 v[62:63], v[135:136], s[4:5]
	s_delay_alu instid0(VALU_DEP_1) | instskip(SKIP_2) | instid1(VALU_DEP_1)
	v_add_f64 v[62:63], v[68:69], v[62:63]
	v_mul_f64 v[68:69], v[123:124], s[16:17]
	s_waitcnt vmcnt(0)
	v_add_f64 v[68:69], v[70:71], v[68:69]
	v_mul_f64 v[70:71], v[110:111], s[22:23]
	s_delay_alu instid0(VALU_DEP_1) | instskip(SKIP_1) | instid1(VALU_DEP_2)
	v_add_f64 v[70:71], v[76:77], v[70:71]
	v_mul_f64 v[76:77], v[131:132], s[10:11]
	v_add_f64 v[56:57], v[70:71], v[56:57]
	s_delay_alu instid0(VALU_DEP_2) | instskip(SKIP_2) | instid1(VALU_DEP_4)
	v_add_f64 v[76:77], v[76:77], -v[78:79]
	v_mul_f64 v[78:79], v[119:120], s[4:5]
	v_mul_f64 v[70:71], v[139:140], s[20:21]
	v_add_f64 v[56:57], v[68:69], v[56:57]
	v_mul_f64 v[68:69], v[159:160], s[18:19]
	s_delay_alu instid0(VALU_DEP_4) | instskip(SKIP_1) | instid1(VALU_DEP_4)
	v_add_f64 v[78:79], v[78:79], -v[80:81]
	v_mul_f64 v[80:81], v[115:116], s[16:17]
	v_add_f64 v[56:57], v[62:63], v[56:57]
	v_mul_f64 v[62:63], v[147:148], s[18:19]
	s_delay_alu instid0(VALU_DEP_3) | instskip(SKIP_1) | instid1(VALU_DEP_4)
	v_add_f64 v[80:81], v[80:81], -v[82:83]
	v_mul_f64 v[82:83], v[106:107], s[22:23]
	v_add_f64 v[56:57], v[60:61], v[56:57]
	v_mul_f64 v[60:61], v[163:164], s[6:7]
	s_delay_alu instid0(VALU_DEP_3) | instskip(SKIP_1) | instid1(VALU_DEP_2)
	v_add_f64 v[82:83], v[82:83], -v[84:85]
	v_mul_f64 v[84:85], v[151:152], s[20:21]
	v_add_f64 v[58:59], v[82:83], v[58:59]
	scratch_load_b64 v[82:83], off, off offset:504 ; 8-byte Folded Reload
	v_add_f64 v[58:59], v[80:81], v[58:59]
	scratch_load_b64 v[80:81], off, off offset:568 ; 8-byte Folded Reload
	;; [unrolled: 2-line block ×6, first 2 shown]
	s_waitcnt vmcnt(5)
	v_add_f64 v[70:71], v[70:71], -v[82:83]
	s_delay_alu instid0(VALU_DEP_1)
	v_add_f64 v[58:59], v[70:71], v[58:59]
	v_mul_f64 v[70:71], v[155:156], s[6:7]
	s_waitcnt vmcnt(4)
	v_add_f64 v[68:69], v[80:81], v[68:69]
	scratch_load_b64 v[80:81], off, off offset:552 ; 8-byte Folded Reload
	v_add_f64 v[56:57], v[68:69], v[56:57]
	v_mul_f64 v[68:69], v[123:124], s[6:7]
	s_waitcnt vmcnt(3)
	v_add_f64 v[60:61], v[76:77], v[60:61]
	scratch_load_b64 v[76:77], off, off offset:464 ; 8-byte Folded Reload
	s_waitcnt vmcnt(0)
	v_add_f64 v[70:71], v[70:71], -v[76:77]
	s_clause 0x1
	scratch_load_b64 v[76:77], off, off offset:528
	scratch_load_b64 v[82:83], off, off offset:472
	v_add_f64 v[62:63], v[62:63], -v[78:79]
	scratch_load_b64 v[78:79], off, off offset:624 ; 8-byte Folded Reload
	v_add_f64 v[62:63], v[62:63], v[58:59]
	v_add_f64 v[58:59], v[60:61], v[56:57]
	v_mul_f64 v[60:61], v[143:144], s[22:23]
	s_delay_alu instid0(VALU_DEP_3) | instskip(SKIP_3) | instid1(VALU_DEP_2)
	v_add_f64 v[56:57], v[70:71], v[62:63]
	scratch_load_b64 v[70:71], off, off offset:600 ; 8-byte Folded Reload
	v_mul_f64 v[62:63], v[135:136], s[10:11]
	v_add_f64 v[60:61], v[153:154], v[60:61]
	v_add_f64 v[62:63], v[145:146], v[62:63]
	s_waitcnt vmcnt(0)
	v_add_f64 v[68:69], v[70:71], v[68:69]
	v_mul_f64 v[70:71], v[110:111], s[20:21]
	s_delay_alu instid0(VALU_DEP_1) | instskip(SKIP_1) | instid1(VALU_DEP_2)
	v_add_f64 v[70:71], v[76:77], v[70:71]
	v_mul_f64 v[76:77], v[131:132], s[22:23]
	v_add_f64 v[70:71], v[70:71], v[72:73]
	s_delay_alu instid0(VALU_DEP_2) | instskip(SKIP_1) | instid1(VALU_DEP_3)
	v_add_f64 v[76:77], v[76:77], -v[78:79]
	v_mul_f64 v[78:79], v[119:120], s[10:11]
	v_add_f64 v[68:69], v[68:69], v[70:71]
	s_delay_alu instid0(VALU_DEP_2) | instskip(SKIP_1) | instid1(VALU_DEP_3)
	v_add_f64 v[78:79], v[78:79], -v[80:81]
	;; [unrolled: 4-line block ×3, first 2 shown]
	v_mul_f64 v[82:83], v[106:107], s[20:21]
	v_add_f64 v[60:61], v[60:61], v[62:63]
	s_delay_alu instid0(VALU_DEP_2) | instskip(SKIP_1) | instid1(VALU_DEP_2)
	v_add_f64 v[82:83], v[82:83], -v[84:85]
	v_mul_f64 v[84:85], v[151:152], s[14:15]
	v_add_f64 v[72:73], v[82:83], v[74:75]
	scratch_load_b64 v[82:83], off, off offset:616 ; 8-byte Folded Reload
	v_mul_f64 v[74:75], v[139:140], s[14:15]
	v_add_f64 v[84:85], v[149:150], v[84:85]
	v_add_f64 v[70:71], v[80:81], v[72:73]
	scratch_load_b64 v[80:81], off, off offset:640 ; 8-byte Folded Reload
	v_mul_f64 v[72:73], v[159:160], s[4:5]
	v_add_f64 v[60:61], v[84:85], v[60:61]
	v_add_f64 v[68:69], v[78:79], v[70:71]
	v_mul_f64 v[70:71], v[147:148], s[4:5]
	s_delay_alu instid0(VALU_DEP_2)
	v_add_f64 v[62:63], v[76:77], v[68:69]
	s_clause 0x1
	scratch_load_b64 v[76:77], off, off offset:632
	scratch_load_b64 v[78:79], off, off offset:592
	v_mul_f64 v[68:69], v[163:164], s[18:19]
	s_waitcnt vmcnt(3)
	v_add_f64 v[74:75], v[74:75], -v[82:83]
	s_clause 0x1
	scratch_load_b64 v[82:83], off, off offset:168
	scratch_load_b64 v[84:85], off, off offset:136
	s_waitcnt vmcnt(4)
	v_add_f64 v[72:73], v[80:81], v[72:73]
	v_add_f64 v[62:63], v[74:75], v[62:63]
	v_mul_f64 v[74:75], v[155:156], s[18:19]
	scratch_load_b64 v[80:81], off, off offset:112 ; 8-byte Folded Reload
	v_add_f64 v[60:61], v[72:73], v[60:61]
	scratch_load_b64 v[72:73], off, off offset:120 ; 8-byte Folded Reload
	s_waitcnt vmcnt(5)
	v_add_f64 v[68:69], v[76:77], v[68:69]
	scratch_load_b64 v[76:77], off, off offset:576 ; 8-byte Folded Reload
	s_waitcnt vmcnt(5)
	v_add_f64 v[70:71], v[70:71], -v[78:79]
	scratch_load_b64 v[78:79], off, off offset:96 ; 8-byte Folded Reload
	v_add_f64 v[70:71], v[70:71], v[62:63]
	v_add_f64 v[62:63], v[68:69], v[60:61]
	v_mul_f64 v[68:69], v[135:136], s[14:15]
	s_waitcnt vmcnt(1)
	v_add_f64 v[74:75], v[74:75], -v[76:77]
	scratch_load_b64 v[76:77], off, off offset:64 ; 8-byte Folded Reload
	v_add_f64 v[60:61], v[74:75], v[70:71]
	s_clause 0x1
	scratch_load_b64 v[70:71], off, off offset:144
	scratch_load_b64 v[74:75], off, off offset:80
	s_waitcnt vmcnt(1)
	v_add_f64 v[68:69], v[70:71], v[68:69]
	v_mul_f64 v[70:71], v[123:124], s[10:11]
	s_delay_alu instid0(VALU_DEP_1) | instskip(SKIP_2) | instid1(VALU_DEP_1)
	v_add_f64 v[70:71], v[72:73], v[70:71]
	v_mul_f64 v[72:73], v[110:111], s[6:7]
	s_waitcnt vmcnt(0)
	v_add_f64 v[72:73], v[74:75], v[72:73]
	v_mul_f64 v[74:75], v[106:107], s[6:7]
	s_delay_alu instid0(VALU_DEP_2) | instskip(NEXT) | instid1(VALU_DEP_2)
	v_add_f64 v[64:65], v[72:73], v[64:65]
	v_add_f64 v[74:75], v[74:75], -v[76:77]
	v_mul_f64 v[72:73], v[139:140], s[18:19]
	v_mul_f64 v[76:77], v[115:116], s[10:11]
	s_delay_alu instid0(VALU_DEP_4) | instskip(NEXT) | instid1(VALU_DEP_4)
	v_add_f64 v[64:65], v[70:71], v[64:65]
	v_add_f64 v[66:67], v[74:75], v[66:67]
	scratch_load_b64 v[74:75], off, off offset:160 ; 8-byte Folded Reload
	v_mul_f64 v[70:71], v[159:160], s[20:21]
	v_add_f64 v[76:77], v[76:77], -v[78:79]
	v_mul_f64 v[78:79], v[119:120], s[14:15]
	v_add_f64 v[64:65], v[68:69], v[64:65]
	v_mul_f64 v[68:69], v[147:148], s[20:21]
	s_delay_alu instid0(VALU_DEP_4) | instskip(NEXT) | instid1(VALU_DEP_4)
	v_add_f64 v[66:67], v[76:77], v[66:67]
	v_add_f64 v[78:79], v[78:79], -v[80:81]
	v_mul_f64 v[80:81], v[143:144], s[16:17]
	scratch_load_b64 v[76:77], off, off offset:216 ; 8-byte Folded Reload
	v_add_f64 v[66:67], v[78:79], v[66:67]
	v_add_f64 v[80:81], v[82:83], v[80:81]
	v_mul_f64 v[82:83], v[131:132], s[16:17]
	s_delay_alu instid0(VALU_DEP_2) | instskip(NEXT) | instid1(VALU_DEP_2)
	v_add_f64 v[64:65], v[80:81], v[64:65]
	v_add_f64 v[82:83], v[82:83], -v[84:85]
	v_mul_f64 v[84:85], v[151:152], s[18:19]
	s_delay_alu instid0(VALU_DEP_2) | instskip(NEXT) | instid1(VALU_DEP_2)
	v_add_f64 v[66:67], v[82:83], v[66:67]
	v_add_f64 v[84:85], v[86:87], v[84:85]
	s_delay_alu instid0(VALU_DEP_1)
	v_add_f64 v[64:65], v[84:85], v[64:65]
	s_waitcnt vmcnt(1)
	v_add_f64 v[72:73], v[72:73], -v[74:75]
	scratch_load_b64 v[74:75], off, off offset:208 ; 8-byte Folded Reload
	v_add_f64 v[66:67], v[72:73], v[66:67]
	v_mul_f64 v[72:73], v[155:156], s[22:23]
	s_waitcnt vmcnt(0)
	v_add_f64 v[70:71], v[74:75], v[70:71]
	scratch_load_b64 v[74:75], off, off offset:176 ; 8-byte Folded Reload
	v_add_f64 v[64:65], v[70:71], v[64:65]
	s_waitcnt vmcnt(0)
	v_add_f64 v[68:69], v[68:69], -v[74:75]
	v_mul_f64 v[74:75], v[163:164], s[22:23]
	s_delay_alu instid0(VALU_DEP_2) | instskip(NEXT) | instid1(VALU_DEP_2)
	v_add_f64 v[68:69], v[68:69], v[66:67]
	v_add_f64 v[74:75], v[76:77], v[74:75]
	scratch_load_b64 v[76:77], off, off offset:192 ; 8-byte Folded Reload
	v_add_f64 v[66:67], v[74:75], v[64:65]
	s_waitcnt vmcnt(0)
	v_add_f64 v[72:73], v[72:73], -v[76:77]
	s_delay_alu instid0(VALU_DEP_1) | instskip(SKIP_1) | instid1(VALU_DEP_1)
	v_add_f64 v[64:65], v[72:73], v[68:69]
	v_and_b32_e32 v68, 0xffff, v243
	v_add_lshl_u32 v68, v172, v68, 4
	ds_store_b128 v68, v[48:51] offset:32
	ds_store_b128 v68, v[28:31] offset:128
	;; [unrolled: 1-line block ×15, first 2 shown]
	ds_store_b128 v68, v[40:43]
	ds_store_b128 v68, v[0:3] offset:256
.LBB0_7:
	s_or_b32 exec_lo, exec_lo, s24
	v_mad_u64_u32 v[52:53], null, 0x70, v171, s[0:1]
	s_load_b128 s[0:3], s[2:3], 0x0
	s_waitcnt lgkmcnt(0)
	s_barrier
	buffer_gl0_inv
	v_add_lshl_u32 v114, v172, v171, 4
	s_mov_b32 s4, 0x667f3bcd
	s_clause 0x6
	global_load_b128 v[44:47], v[52:53], off
	global_load_b128 v[40:43], v[52:53], off offset:16
	global_load_b128 v[211:214], v[52:53], off offset:48
	;; [unrolled: 1-line block ×6, first 2 shown]
	ds_load_b128 v[64:67], v114 offset:272
	ds_load_b128 v[68:71], v114 offset:544
	ds_load_b128 v[72:75], v114 offset:1088
	ds_load_b128 v[76:79], v114 offset:1632
	ds_load_b128 v[80:83], v114 offset:1360
	ds_load_b128 v[84:87], v114 offset:816
	ds_load_b128 v[88:91], v114 offset:1904
	scratch_load_b32 v36, off, off offset:12 ; 4-byte Folded Reload
	s_mov_b32 s5, 0xbfe6a09e
	s_mov_b32 s7, 0x3fe6a09e
	;; [unrolled: 1-line block ×3, first 2 shown]
	s_waitcnt vmcnt(7) lgkmcnt(6)
	v_mul_f64 v[92:93], v[66:67], v[46:47]
	v_mul_f64 v[94:95], v[64:65], v[46:47]
	s_waitcnt vmcnt(6) lgkmcnt(5)
	v_mul_f64 v[96:97], v[70:71], v[42:43]
	v_mul_f64 v[98:99], v[68:69], v[42:43]
	;; [unrolled: 3-line block ×7, first 2 shown]
	s_waitcnt vmcnt(0)
	v_lshl_add_u32 v113, v171, 4, v36
	v_fma_f64 v[92:93], v[64:65], v[44:45], -v[92:93]
	v_fma_f64 v[94:95], v[66:67], v[44:45], v[94:95]
	v_fma_f64 v[68:69], v[68:69], v[40:41], -v[96:97]
	v_fma_f64 v[70:71], v[70:71], v[40:41], v[98:99]
	;; [unrolled: 2-line block ×7, first 2 shown]
	ds_load_b128 v[64:67], v114
	s_waitcnt lgkmcnt(0)
	v_add_f64 v[72:73], v[64:65], -v[72:73]
	v_add_f64 v[74:75], v[66:67], -v[74:75]
	;; [unrolled: 1-line block ×8, first 2 shown]
	v_fma_f64 v[64:65], v[64:65], 2.0, -v[72:73]
	v_fma_f64 v[66:67], v[66:67], 2.0, -v[74:75]
	v_fma_f64 v[68:69], v[68:69], 2.0, -v[76:77]
	v_fma_f64 v[70:71], v[70:71], 2.0, -v[78:79]
	v_fma_f64 v[92:93], v[92:93], 2.0, -v[80:81]
	v_fma_f64 v[94:95], v[94:95], 2.0, -v[82:83]
	v_add_f64 v[78:79], v[72:73], -v[78:79]
	v_add_f64 v[96:97], v[74:75], v[76:77]
	v_fma_f64 v[76:77], v[84:85], 2.0, -v[88:89]
	v_fma_f64 v[84:85], v[86:87], 2.0, -v[90:91]
	v_add_f64 v[86:87], v[80:81], -v[90:91]
	v_add_f64 v[98:99], v[82:83], v[88:89]
	v_add_f64 v[68:69], v[64:65], -v[68:69]
	v_add_f64 v[70:71], v[66:67], -v[70:71]
	v_fma_f64 v[100:101], v[72:73], 2.0, -v[78:79]
	v_fma_f64 v[102:103], v[74:75], 2.0, -v[96:97]
	v_add_f64 v[72:73], v[92:93], -v[76:77]
	v_add_f64 v[74:75], v[94:95], -v[84:85]
	v_fma_f64 v[76:77], v[80:81], 2.0, -v[86:87]
	v_fma_f64 v[84:85], v[82:83], 2.0, -v[98:99]
	v_fma_f64 v[80:81], v[86:87], s[6:7], v[78:79]
	v_fma_f64 v[82:83], v[98:99], s[6:7], v[96:97]
	v_fma_f64 v[64:65], v[64:65], 2.0, -v[68:69]
	v_fma_f64 v[66:67], v[66:67], 2.0, -v[70:71]
	;; [unrolled: 1-line block ×4, first 2 shown]
	v_fma_f64 v[108:109], v[76:77], s[4:5], v[100:101]
	v_fma_f64 v[110:111], v[84:85], s[4:5], v[102:103]
	v_add_f64 v[88:89], v[68:69], -v[74:75]
	v_add_f64 v[90:91], v[70:71], v[72:73]
	v_fma_f64 v[92:93], v[98:99], s[4:5], v[80:81]
	v_fma_f64 v[94:95], v[86:87], s[6:7], v[82:83]
	v_add_f64 v[80:81], v[64:65], -v[104:105]
	v_add_f64 v[82:83], v[66:67], -v[106:107]
	v_fma_f64 v[84:85], v[84:85], s[4:5], v[108:109]
	v_fma_f64 v[86:87], v[76:77], s[6:7], v[110:111]
	v_fma_f64 v[72:73], v[68:69], 2.0, -v[88:89]
	v_fma_f64 v[74:75], v[70:71], 2.0, -v[90:91]
	;; [unrolled: 1-line block ×8, first 2 shown]
	ds_store_b128 v113, v[88:91] offset:1632
	ds_store_b128 v113, v[92:95] offset:1904
	;; [unrolled: 1-line block ×6, first 2 shown]
	ds_store_b128 v113, v[64:67]
	ds_store_b128 v113, v[68:71] offset:272
	s_waitcnt lgkmcnt(0)
	s_barrier
	buffer_gl0_inv
	s_and_saveexec_b32 s6, vcc_lo
	s_cbranch_execz .LBB0_9
; %bb.8:
	s_add_u32 s4, s8, 0x880
	s_addc_u32 s5, s9, 0
	s_clause 0x7
	global_load_b128 v[108:111], v249, s[8:9] offset:2176
	global_load_b128 v[96:99], v249, s[4:5] offset:128
	;; [unrolled: 1-line block ×8, first 2 shown]
	scratch_load_b32 v36, off, off          ; 4-byte Folded Reload
	s_clause 0x1
	global_load_b128 v[135:138], v249, s[4:5] offset:1024
	global_load_b128 v[139:142], v249, s[4:5] offset:1152
	s_waitcnt vmcnt(2)
	ds_load_b128 v[131:134], v36
	s_waitcnt lgkmcnt(0)
	v_mul_f64 v[143:144], v[133:134], v[110:111]
	v_mul_f64 v[110:111], v[131:132], v[110:111]
	s_delay_alu instid0(VALU_DEP_2) | instskip(NEXT) | instid1(VALU_DEP_2)
	v_fma_f64 v[131:132], v[131:132], v[108:109], -v[143:144]
	v_fma_f64 v[133:134], v[133:134], v[108:109], v[110:111]
	s_clause 0x1
	global_load_b128 v[108:111], v249, s[4:5] offset:1280
	global_load_b128 v[143:146], v249, s[4:5] offset:1408
	ds_store_b128 v36, v[131:134]
	ds_load_b128 v[131:134], v113 offset:128
	ds_load_b128 v[147:150], v113 offset:256
	s_waitcnt lgkmcnt(1)
	v_mul_f64 v[151:152], v[133:134], v[98:99]
	v_mul_f64 v[98:99], v[131:132], v[98:99]
	s_waitcnt lgkmcnt(0)
	v_mul_f64 v[155:156], v[149:150], v[102:103]
	v_mul_f64 v[102:103], v[147:148], v[102:103]
	s_delay_alu instid0(VALU_DEP_4) | instskip(NEXT) | instid1(VALU_DEP_4)
	v_fma_f64 v[131:132], v[131:132], v[96:97], -v[151:152]
	v_fma_f64 v[133:134], v[133:134], v[96:97], v[98:99]
	ds_load_b128 v[96:99], v113 offset:384
	ds_load_b128 v[151:154], v113 offset:512
	v_fma_f64 v[147:148], v[147:148], v[100:101], -v[155:156]
	v_fma_f64 v[149:150], v[149:150], v[100:101], v[102:103]
	s_waitcnt lgkmcnt(1)
	v_mul_f64 v[157:158], v[98:99], v[106:107]
	v_mul_f64 v[100:101], v[96:97], v[106:107]
	s_waitcnt lgkmcnt(0)
	v_mul_f64 v[155:156], v[153:154], v[117:118]
	v_mul_f64 v[117:118], v[151:152], v[117:118]
	s_delay_alu instid0(VALU_DEP_4) | instskip(NEXT) | instid1(VALU_DEP_4)
	v_fma_f64 v[96:97], v[96:97], v[104:105], -v[157:158]
	v_fma_f64 v[98:99], v[98:99], v[104:105], v[100:101]
	ds_load_b128 v[100:103], v113 offset:640
	ds_load_b128 v[104:107], v113 offset:768
	v_fma_f64 v[151:152], v[151:152], v[115:116], -v[155:156]
	v_fma_f64 v[153:154], v[153:154], v[115:116], v[117:118]
	;; [unrolled: 13-line block ×3, first 2 shown]
	s_waitcnt lgkmcnt(1)
	v_mul_f64 v[157:158], v[117:118], v[129:130]
	v_mul_f64 v[123:124], v[115:116], v[129:130]
	s_waitcnt vmcnt(3) lgkmcnt(0)
	v_mul_f64 v[155:156], v[121:122], v[137:138]
	v_mul_f64 v[137:138], v[119:120], v[137:138]
	s_delay_alu instid0(VALU_DEP_4) | instskip(NEXT) | instid1(VALU_DEP_4)
	v_fma_f64 v[115:116], v[115:116], v[127:128], -v[157:158]
	v_fma_f64 v[117:118], v[117:118], v[127:128], v[123:124]
	ds_load_b128 v[123:126], v113 offset:1152
	ds_load_b128 v[127:130], v113 offset:1280
	v_fma_f64 v[119:120], v[119:120], v[135:136], -v[155:156]
	v_fma_f64 v[121:122], v[121:122], v[135:136], v[137:138]
	s_waitcnt vmcnt(2) lgkmcnt(1)
	v_mul_f64 v[157:158], v[125:126], v[141:142]
	v_mul_f64 v[135:136], v[123:124], v[141:142]
	s_waitcnt vmcnt(1) lgkmcnt(0)
	v_mul_f64 v[155:156], v[129:130], v[110:111]
	v_mul_f64 v[110:111], v[127:128], v[110:111]
	s_delay_alu instid0(VALU_DEP_4) | instskip(NEXT) | instid1(VALU_DEP_4)
	v_fma_f64 v[123:124], v[123:124], v[139:140], -v[157:158]
	v_fma_f64 v[125:126], v[125:126], v[139:140], v[135:136]
	ds_load_b128 v[139:142], v113 offset:1408
	global_load_b128 v[135:138], v249, s[4:5] offset:1536
	v_fma_f64 v[127:128], v[127:128], v[108:109], -v[155:156]
	v_fma_f64 v[129:130], v[129:130], v[108:109], v[110:111]
	ds_load_b128 v[108:111], v113 offset:1536
	s_waitcnt vmcnt(1) lgkmcnt(1)
	v_mul_f64 v[155:156], v[141:142], v[145:146]
	v_mul_f64 v[145:146], v[139:140], v[145:146]
	s_delay_alu instid0(VALU_DEP_2) | instskip(NEXT) | instid1(VALU_DEP_2)
	v_fma_f64 v[139:140], v[139:140], v[143:144], -v[155:156]
	v_fma_f64 v[141:142], v[141:142], v[143:144], v[145:146]
	global_load_b128 v[143:146], v249, s[4:5] offset:1664
	s_waitcnt vmcnt(1) lgkmcnt(0)
	v_mul_f64 v[155:156], v[110:111], v[137:138]
	v_mul_f64 v[137:138], v[108:109], v[137:138]
	s_delay_alu instid0(VALU_DEP_2) | instskip(NEXT) | instid1(VALU_DEP_2)
	v_fma_f64 v[108:109], v[108:109], v[135:136], -v[155:156]
	v_fma_f64 v[110:111], v[110:111], v[135:136], v[137:138]
	ds_load_b128 v[135:138], v113 offset:1664
	ds_load_b128 v[155:158], v113 offset:1792
	s_waitcnt vmcnt(0) lgkmcnt(1)
	v_mul_f64 v[159:160], v[137:138], v[145:146]
	v_mul_f64 v[145:146], v[135:136], v[145:146]
	s_delay_alu instid0(VALU_DEP_2) | instskip(NEXT) | instid1(VALU_DEP_2)
	v_fma_f64 v[135:136], v[135:136], v[143:144], -v[159:160]
	v_fma_f64 v[137:138], v[137:138], v[143:144], v[145:146]
	s_clause 0x1
	global_load_b128 v[143:146], v249, s[4:5] offset:1792
	global_load_b128 v[159:162], v249, s[4:5] offset:1920
	s_waitcnt vmcnt(1) lgkmcnt(0)
	v_mul_f64 v[163:164], v[157:158], v[145:146]
	v_mul_f64 v[145:146], v[155:156], v[145:146]
	s_delay_alu instid0(VALU_DEP_2) | instskip(NEXT) | instid1(VALU_DEP_2)
	v_fma_f64 v[155:156], v[155:156], v[143:144], -v[163:164]
	v_fma_f64 v[157:158], v[157:158], v[143:144], v[145:146]
	ds_load_b128 v[143:146], v113 offset:1920
	ds_load_b128 v[163:166], v113 offset:2048
	s_waitcnt vmcnt(0) lgkmcnt(1)
	v_mul_f64 v[167:168], v[145:146], v[161:162]
	v_mul_f64 v[161:162], v[143:144], v[161:162]
	s_delay_alu instid0(VALU_DEP_2) | instskip(NEXT) | instid1(VALU_DEP_2)
	v_fma_f64 v[143:144], v[143:144], v[159:160], -v[167:168]
	v_fma_f64 v[145:146], v[145:146], v[159:160], v[161:162]
	global_load_b128 v[159:162], v249, s[4:5] offset:2048
	s_waitcnt vmcnt(0) lgkmcnt(0)
	v_mul_f64 v[167:168], v[165:166], v[161:162]
	v_mul_f64 v[169:170], v[163:164], v[161:162]
	s_delay_alu instid0(VALU_DEP_2) | instskip(NEXT) | instid1(VALU_DEP_2)
	v_fma_f64 v[161:162], v[163:164], v[159:160], -v[167:168]
	v_fma_f64 v[163:164], v[165:166], v[159:160], v[169:170]
	ds_store_b128 v113, v[131:134] offset:128
	ds_store_b128 v113, v[147:150] offset:256
	;; [unrolled: 1-line block ×16, first 2 shown]
.LBB0_9:
	s_or_b32 exec_lo, exec_lo, s6
	s_waitcnt lgkmcnt(0)
	s_barrier
	buffer_gl0_inv
	s_and_saveexec_b32 s4, vcc_lo
	s_cbranch_execz .LBB0_11
; %bb.10:
	scratch_load_b32 v0, off, off           ; 4-byte Folded Reload
	s_waitcnt vmcnt(0)
	ds_load_b128 v[64:67], v0
	ds_load_b128 v[68:71], v113 offset:128
	ds_load_b128 v[72:75], v113 offset:256
	;; [unrolled: 1-line block ×16, first 2 shown]
.LBB0_11:
	s_or_b32 exec_lo, exec_lo, s4
	s_waitcnt lgkmcnt(0)
	s_barrier
	buffer_gl0_inv
	s_and_saveexec_b32 s33, vcc_lo
	s_cbranch_execz .LBB0_13
; %bb.12:
	v_add_f64 v[98:99], v[64:65], v[68:69]
	v_add_f64 v[96:97], v[66:67], v[70:71]
	v_add_f64 v[100:101], v[30:31], -v[34:35]
	v_add_f64 v[106:107], v[72:73], -v[4:5]
	s_mov_b32 s24, 0x6c9a05f6
	s_mov_b32 s25, 0xbfe9895b
	;; [unrolled: 1-line block ×34, first 2 shown]
	v_add_f64 v[98:99], v[72:73], v[98:99]
	v_add_f64 v[96:97], v[74:75], v[96:97]
	;; [unrolled: 1-line block ×3, first 2 shown]
	s_mov_b32 s22, 0x370991
	s_mov_b32 s7, 0xbfeb34fa
	;; [unrolled: 1-line block ×4, first 2 shown]
	v_mul_f64 v[183:184], v[100:101], s[26:27]
	s_mov_b32 s51, 0x3fe9895b
	s_mov_b32 s50, s24
	;; [unrolled: 1-line block ×4, first 2 shown]
	v_mul_f64 v[187:188], v[100:101], s[44:45]
	v_mul_f64 v[215:216], v[100:101], s[30:31]
	;; [unrolled: 1-line block ×5, first 2 shown]
	scratch_store_b32 off, v243, off offset:256 ; 4-byte Folded Spill
	v_mov_b32_e32 v243, v171
	v_add_f64 v[98:99], v[76:77], v[98:99]
	v_add_f64 v[96:97], v[78:79], v[96:97]
	s_delay_alu instid0(VALU_DEP_2) | instskip(NEXT) | instid1(VALU_DEP_2)
	v_add_f64 v[98:99], v[80:81], v[98:99]
	v_add_f64 v[96:97], v[82:83], v[96:97]
	s_delay_alu instid0(VALU_DEP_2) | instskip(NEXT) | instid1(VALU_DEP_2)
	;; [unrolled: 3-line block ×5, first 2 shown]
	v_add_f64 v[104:105], v[28:29], v[98:99]
	v_add_f64 v[102:103], v[30:31], v[96:97]
	v_add_f64 v[98:99], v[28:29], -v[32:33]
	v_add_f64 v[96:97], v[30:31], v[34:35]
	v_add_f64 v[28:29], v[28:29], v[32:33]
	;; [unrolled: 1-line block ×5, first 2 shown]
	v_add_f64 v[34:35], v[92:93], -v[24:25]
	v_add_f64 v[32:33], v[94:95], v[26:27]
	v_add_f64 v[92:93], v[94:95], -v[26:27]
	v_add_f64 v[94:95], v[88:89], -v[20:21]
	v_mul_f64 v[181:182], v[98:99], s[26:27]
	v_mul_f64 v[185:186], v[98:99], s[44:45]
	;; [unrolled: 1-line block ×5, first 2 shown]
	v_add_f64 v[104:105], v[24:25], v[104:105]
	v_add_f64 v[102:103], v[26:27], v[102:103]
	;; [unrolled: 1-line block ×4, first 2 shown]
	v_add_f64 v[88:89], v[90:91], -v[22:23]
	v_add_f64 v[90:91], v[84:85], -v[16:17]
	v_mul_f64 v[233:234], v[94:95], s[52:53]
	v_mul_f64 v[237:238], v[34:35], s[44:45]
	;; [unrolled: 1-line block ×8, first 2 shown]
	v_add_f64 v[104:105], v[20:21], v[104:105]
	v_add_f64 v[102:103], v[22:23], v[102:103]
	v_add_f64 v[22:23], v[86:87], v[18:19]
	v_add_f64 v[20:21], v[84:85], v[16:17]
	v_add_f64 v[84:85], v[86:87], -v[18:19]
	v_add_f64 v[86:87], v[80:81], -v[12:13]
	v_mul_f64 v[235:236], v[88:89], s[52:53]
	v_mul_f64 v[171:172], v[90:91], s[34:35]
	;; [unrolled: 1-line block ×5, first 2 shown]
	v_add_f64 v[104:105], v[16:17], v[104:105]
	v_add_f64 v[102:103], v[18:19], v[102:103]
	;; [unrolled: 1-line block ×4, first 2 shown]
	v_add_f64 v[82:83], v[82:83], -v[14:15]
	v_add_f64 v[80:81], v[10:11], v[78:79]
	v_add_f64 v[78:79], v[78:79], -v[10:11]
	v_mul_f64 v[225:226], v[86:87], s[30:31]
	v_mul_f64 v[201:202], v[84:85], s[36:37]
	v_add_f64 v[12:13], v[12:13], v[104:105]
	v_add_f64 v[14:15], v[14:15], v[102:103]
	v_add_f64 v[102:103], v[76:77], -v[8:9]
	v_add_f64 v[76:77], v[8:9], v[76:77]
	v_add_f64 v[104:105], v[74:75], -v[6:7]
	v_add_f64 v[74:75], v[74:75], v[6:7]
	v_mul_f64 v[223:224], v[78:79], s[24:25]
	v_mul_f64 v[227:228], v[82:83], s[30:31]
	;; [unrolled: 1-line block ×5, first 2 shown]
	v_add_f64 v[8:9], v[8:9], v[12:13]
	v_add_f64 v[10:11], v[10:11], v[14:15]
	;; [unrolled: 1-line block ×4, first 2 shown]
	v_mul_f64 v[163:164], v[102:103], s[36:37]
	v_mul_f64 v[219:220], v[104:105], s[42:43]
	;; [unrolled: 1-line block ×5, first 2 shown]
	v_add_f64 v[4:5], v[4:5], v[8:9]
	v_add_f64 v[8:9], v[68:69], -v[0:1]
	v_add_f64 v[6:7], v[6:7], v[10:11]
	v_add_f64 v[10:11], v[70:71], -v[2:3]
	s_delay_alu instid0(VALU_DEP_4) | instskip(NEXT) | instid1(VALU_DEP_4)
	v_add_f64 v[0:1], v[0:1], v[4:5]
	v_mul_f64 v[68:69], v[8:9], s[24:25]
	s_delay_alu instid0(VALU_DEP_4) | instskip(NEXT) | instid1(VALU_DEP_4)
	v_add_f64 v[2:3], v[2:3], v[6:7]
	v_mul_f64 v[135:136], v[10:11], s[24:25]
	v_mul_f64 v[70:71], v[8:9], s[46:47]
	;; [unrolled: 1-line block ×13, first 2 shown]
	v_fma_f64 v[121:122], v[12:13], s[10:11], v[68:69]
	v_fma_f64 v[68:69], v[12:13], s[10:11], -v[68:69]
	scratch_store_b128 off, v[0:3], off offset:64 ; 16-byte Folded Spill
	v_fma_f64 v[149:150], v[14:15], s[10:11], -v[135:136]
	v_fma_f64 v[135:136], v[14:15], s[10:11], v[135:136]
	v_fma_f64 v[123:124], v[12:13], s[14:15], v[70:71]
	v_fma_f64 v[151:152], v[14:15], s[14:15], -v[137:138]
	v_fma_f64 v[125:126], v[12:13], s[16:17], v[108:109]
	v_fma_f64 v[153:154], v[14:15], s[16:17], -v[139:140]
	v_fma_f64 v[127:128], v[12:13], s[18:19], -v[110:111]
	v_fma_f64 v[110:111], v[12:13], s[18:19], v[110:111]
	v_fma_f64 v[155:156], v[14:15], s[18:19], v[141:142]
	v_fma_f64 v[141:142], v[14:15], s[18:19], -v[141:142]
	v_fma_f64 v[129:130], v[12:13], s[20:21], -v[115:116]
	v_fma_f64 v[115:116], v[12:13], s[20:21], v[115:116]
	v_fma_f64 v[157:158], v[14:15], s[20:21], v[143:144]
	v_fma_f64 v[143:144], v[14:15], s[20:21], -v[143:144]
	v_fma_f64 v[117:118], v[12:13], s[4:5], v[4:5]
	v_fma_f64 v[4:5], v[12:13], s[4:5], -v[4:5]
	;; [unrolled: 2-line block ×3, first 2 shown]
	v_fma_f64 v[70:71], v[12:13], s[14:15], -v[70:71]
	v_fma_f64 v[108:109], v[12:13], s[16:17], -v[108:109]
	;; [unrolled: 1-line block ×3, first 2 shown]
	v_fma_f64 v[8:9], v[12:13], s[22:23], v[8:9]
	v_mul_f64 v[12:13], v[10:11], s[30:31]
	v_mul_f64 v[10:11], v[10:11], s[28:29]
	v_fma_f64 v[147:148], v[14:15], s[6:7], -v[133:134]
	v_fma_f64 v[133:134], v[14:15], s[6:7], v[133:134]
	v_fma_f64 v[137:138], v[14:15], s[14:15], v[137:138]
	v_fma_f64 v[139:140], v[14:15], s[16:17], v[139:140]
	v_add_f64 v[121:122], v[66:67], v[121:122]
	v_add_f64 v[0:1], v[66:67], v[68:69]
	;; [unrolled: 1-line block ×9, first 2 shown]
	v_fma_f64 v[145:146], v[14:15], s[4:5], -v[12:13]
	v_fma_f64 v[12:13], v[14:15], s[4:5], v[12:13]
	v_fma_f64 v[159:160], v[14:15], s[22:23], v[10:11]
	v_fma_f64 v[10:11], v[14:15], s[22:23], -v[10:11]
	v_add_f64 v[14:15], v[66:67], v[117:118]
	v_add_f64 v[147:148], v[64:65], v[147:148]
	;; [unrolled: 1-line block ×4, first 2 shown]
	v_mul_f64 v[137:138], v[82:83], s[42:43]
	v_add_f64 v[70:71], v[64:65], v[139:140]
	v_mul_f64 v[139:140], v[90:91], s[36:37]
	scratch_store_b64 off, v[0:1], off offset:232 ; 8-byte Folded Spill
	v_add_f64 v[0:1], v[64:65], v[135:136]
	v_mul_f64 v[135:136], v[90:91], s[46:47]
	v_add_f64 v[117:118], v[64:65], v[145:146]
	v_add_f64 v[145:146], v[66:67], v[4:5]
	;; [unrolled: 1-line block ×3, first 2 shown]
	scratch_store_b64 off, v[0:1], off offset:224 ; 8-byte Folded Spill
	v_add_f64 v[0:1], v[66:67], v[123:124]
	v_add_f64 v[123:124], v[66:67], v[129:130]
	v_add_f64 v[129:130], v[64:65], v[159:160]
	scratch_store_b64 off, v[0:1], off offset:216 ; 8-byte Folded Spill
	v_add_f64 v[0:1], v[64:65], v[151:152]
	v_mul_f64 v[151:152], v[86:87], s[42:43]
	scratch_store_b64 off, v[0:1], off offset:208 ; 8-byte Folded Spill
	v_add_f64 v[0:1], v[66:67], v[125:126]
	v_add_f64 v[125:126], v[66:67], v[131:132]
	;; [unrolled: 1-line block ×3, first 2 shown]
	v_mul_f64 v[157:158], v[78:79], s[36:37]
	scratch_store_b64 off, v[0:1], off offset:184 ; 8-byte Folded Spill
	v_add_f64 v[0:1], v[64:65], v[153:154]
	v_mul_f64 v[153:154], v[94:95], s[38:39]
	scratch_store_b64 off, v[0:1], off offset:176 ; 8-byte Folded Spill
	v_add_f64 v[0:1], v[66:67], v[110:111]
	scratch_store_b64 off, v[0:1], off offset:168 ; 8-byte Folded Spill
	v_add_f64 v[0:1], v[64:65], v[141:142]
	v_mul_f64 v[141:142], v[86:87], s[40:41]
	scratch_store_b64 off, v[0:1], off offset:160 ; 8-byte Folded Spill
	v_add_f64 v[0:1], v[66:67], v[115:116]
	scratch_store_b64 off, v[0:1], off offset:136 ; 8-byte Folded Spill
	v_add_f64 v[0:1], v[64:65], v[143:144]
	;; [unrolled: 2-line block ×3, first 2 shown]
	v_mul_f64 v[8:9], v[106:107], s[40:41]
	v_fma_f64 v[66:67], v[72:73], s[4:5], v[195:196]
	scratch_store_b64 off, v[0:1], off offset:120 ; 8-byte Folded Spill
	v_fma_f64 v[4:5], v[74:75], s[22:23], v[8:9]
	v_add_f64 v[0:1], v[64:65], v[10:11]
	v_mul_f64 v[10:11], v[104:105], s[40:41]
	v_fma_f64 v[8:9], v[74:75], s[22:23], -v[8:9]
	v_mul_f64 v[64:65], v[94:95], s[24:25]
	v_add_f64 v[66:67], v[66:67], v[70:71]
	v_mul_f64 v[70:71], v[102:103], s[52:53]
	v_add_f64 v[4:5], v[4:5], v[14:15]
	v_mul_f64 v[14:15], v[102:103], s[38:39]
	v_fma_f64 v[6:7], v[72:73], s[22:23], -v[10:11]
	v_fma_f64 v[10:11], v[72:73], s[22:23], v[10:11]
	v_add_f64 v[8:9], v[8:9], v[145:146]
	scratch_store_b64 off, v[0:1], off offset:112 ; 8-byte Folded Spill
	v_fma_f64 v[108:109], v[80:81], s[6:7], v[14:15]
	v_add_f64 v[6:7], v[6:7], v[117:118]
	v_add_f64 v[10:11], v[10:11], v[12:13]
	v_fma_f64 v[12:13], v[80:81], s[6:7], -v[14:15]
	v_fma_f64 v[14:15], v[28:29], s[16:17], v[183:184]
	v_add_f64 v[4:5], v[108:109], v[4:5]
	v_mul_f64 v[108:109], v[78:79], s[38:39]
	s_delay_alu instid0(VALU_DEP_4) | instskip(NEXT) | instid1(VALU_DEP_2)
	v_add_f64 v[8:9], v[12:13], v[8:9]
	v_fma_f64 v[110:111], v[76:77], s[6:7], -v[108:109]
	v_fma_f64 v[12:13], v[76:77], s[6:7], v[108:109]
	v_mul_f64 v[108:109], v[106:107], s[44:45]
	s_delay_alu instid0(VALU_DEP_3) | instskip(SKIP_1) | instid1(VALU_DEP_4)
	v_add_f64 v[6:7], v[110:111], v[6:7]
	v_mul_f64 v[110:111], v[86:87], s[34:35]
	v_add_f64 v[10:11], v[12:13], v[10:11]
	s_delay_alu instid0(VALU_DEP_2) | instskip(SKIP_2) | instid1(VALU_DEP_3)
	v_fma_f64 v[115:116], v[18:19], s[20:21], v[110:111]
	v_fma_f64 v[12:13], v[18:19], s[20:21], -v[110:111]
	v_mul_f64 v[110:111], v[104:105], s[44:45]
	v_add_f64 v[4:5], v[115:116], v[4:5]
	v_mul_f64 v[115:116], v[82:83], s[34:35]
	s_delay_alu instid0(VALU_DEP_4) | instskip(NEXT) | instid1(VALU_DEP_2)
	v_add_f64 v[8:9], v[12:13], v[8:9]
	v_fma_f64 v[117:118], v[16:17], s[20:21], -v[115:116]
	v_fma_f64 v[12:13], v[16:17], s[20:21], v[115:116]
	v_mul_f64 v[115:116], v[102:103], s[42:43]
	s_delay_alu instid0(VALU_DEP_3) | instskip(SKIP_1) | instid1(VALU_DEP_4)
	v_add_f64 v[6:7], v[117:118], v[6:7]
	v_mul_f64 v[117:118], v[90:91], s[24:25]
	v_add_f64 v[10:11], v[12:13], v[10:11]
	s_delay_alu instid0(VALU_DEP_2) | instskip(SKIP_3) | instid1(VALU_DEP_4)
	v_fma_f64 v[143:144], v[22:23], s[10:11], v[117:118]
	v_fma_f64 v[12:13], v[22:23], s[10:11], -v[117:118]
	v_fma_f64 v[117:118], v[80:81], s[16:17], v[115:116]
	v_fma_f64 v[115:116], v[80:81], s[16:17], -v[115:116]
	v_add_f64 v[4:5], v[143:144], v[4:5]
	v_mul_f64 v[143:144], v[84:85], s[24:25]
	v_add_f64 v[8:9], v[12:13], v[8:9]
	s_delay_alu instid0(VALU_DEP_2) | instskip(SKIP_1) | instid1(VALU_DEP_2)
	v_fma_f64 v[159:160], v[20:21], s[10:11], -v[143:144]
	v_fma_f64 v[12:13], v[20:21], s[10:11], v[143:144]
	v_add_f64 v[6:7], v[159:160], v[6:7]
	v_mul_f64 v[159:160], v[94:95], s[44:45]
	s_delay_alu instid0(VALU_DEP_3) | instskip(NEXT) | instid1(VALU_DEP_2)
	v_add_f64 v[10:11], v[12:13], v[10:11]
	v_fma_f64 v[173:174], v[26:27], s[18:19], v[159:160]
	v_fma_f64 v[12:13], v[26:27], s[18:19], -v[159:160]
	s_delay_alu instid0(VALU_DEP_2) | instskip(SKIP_1) | instid1(VALU_DEP_3)
	v_add_f64 v[4:5], v[173:174], v[4:5]
	v_mul_f64 v[173:174], v[88:89], s[44:45]
	v_add_f64 v[8:9], v[12:13], v[8:9]
	s_mov_b32 s45, 0x3fc7851a
	s_mov_b32 s44, s30
	s_delay_alu instid0(SALU_CYCLE_1) | instskip(NEXT) | instid1(VALU_DEP_3)
	v_mul_f64 v[252:253], v[78:79], s[44:45]
	v_fma_f64 v[175:176], v[24:25], s[18:19], -v[173:174]
	v_fma_f64 v[12:13], v[24:25], s[18:19], v[173:174]
	s_delay_alu instid0(VALU_DEP_2) | instskip(SKIP_1) | instid1(VALU_DEP_3)
	v_add_f64 v[6:7], v[175:176], v[6:7]
	v_mul_f64 v[175:176], v[34:35], s[46:47]
	v_add_f64 v[10:11], v[12:13], v[10:11]
	s_delay_alu instid0(VALU_DEP_2) | instskip(SKIP_1) | instid1(VALU_DEP_2)
	v_fma_f64 v[177:178], v[32:33], s[14:15], v[175:176]
	v_fma_f64 v[12:13], v[32:33], s[14:15], -v[175:176]
	v_add_f64 v[4:5], v[177:178], v[4:5]
	v_mul_f64 v[177:178], v[92:93], s[46:47]
	s_delay_alu instid0(VALU_DEP_3) | instskip(NEXT) | instid1(VALU_DEP_2)
	v_add_f64 v[8:9], v[12:13], v[8:9]
	v_fma_f64 v[179:180], v[30:31], s[14:15], -v[177:178]
	v_fma_f64 v[12:13], v[30:31], s[14:15], v[177:178]
	s_delay_alu instid0(VALU_DEP_2) | instskip(SKIP_1) | instid1(VALU_DEP_3)
	v_add_f64 v[179:180], v[179:180], v[6:7]
	v_fma_f64 v[6:7], v[96:97], s[16:17], v[181:182]
	v_add_f64 v[12:13], v[12:13], v[10:11]
	v_fma_f64 v[10:11], v[96:97], s[16:17], -v[181:182]
	v_mul_f64 v[181:182], v[98:99], s[46:47]
	s_delay_alu instid0(VALU_DEP_4) | instskip(SKIP_3) | instid1(VALU_DEP_3)
	v_add_f64 v[2:3], v[6:7], v[4:5]
	v_fma_f64 v[4:5], v[28:29], s[16:17], -v[183:184]
	v_mul_f64 v[183:184], v[100:101], s[46:47]
	v_fma_f64 v[6:7], v[24:25], s[22:23], v[189:190]
	v_add_f64 v[0:1], v[4:5], v[179:180]
	v_mul_f64 v[4:5], v[92:93], s[38:39]
	scratch_store_b128 off, v[0:3], off offset:80 ; 16-byte Folded Spill
	v_add_f64 v[0:1], v[14:15], v[12:13]
	v_fma_f64 v[12:13], v[74:75], s[18:19], v[108:109]
	v_fma_f64 v[14:15], v[72:73], s[18:19], -v[110:111]
	v_fma_f64 v[108:109], v[74:75], s[18:19], -v[108:109]
	v_fma_f64 v[110:111], v[72:73], s[18:19], v[110:111]
	v_add_f64 v[2:3], v[10:11], v[8:9]
	v_mul_f64 v[8:9], v[34:35], s[38:39]
	v_fma_f64 v[10:11], v[32:33], s[16:17], -v[191:192]
	v_add_f64 v[12:13], v[12:13], v[119:120]
	v_add_f64 v[14:15], v[14:15], v[147:148]
	;; [unrolled: 1-line block ×4, first 2 shown]
	scratch_store_b128 off, v[0:3], off offset:96 ; 16-byte Folded Spill
	v_mul_f64 v[161:162], v[82:83], s[38:39]
	v_add_f64 v[12:13], v[117:118], v[12:13]
	v_mul_f64 v[117:118], v[78:79], s[42:43]
	v_add_f64 v[108:109], v[115:116], v[108:109]
	s_delay_alu instid0(VALU_DEP_2) | instskip(SKIP_2) | instid1(VALU_DEP_3)
	v_fma_f64 v[119:120], v[76:77], s[16:17], -v[117:118]
	v_fma_f64 v[115:116], v[76:77], s[16:17], v[117:118]
	v_fma_f64 v[117:118], v[28:29], s[14:15], v[183:184]
	v_add_f64 v[14:15], v[119:120], v[14:15]
	v_mul_f64 v[119:120], v[86:87], s[50:51]
	s_delay_alu instid0(VALU_DEP_4) | instskip(NEXT) | instid1(VALU_DEP_2)
	v_add_f64 v[110:111], v[115:116], v[110:111]
	v_fma_f64 v[143:144], v[18:19], s[10:11], v[119:120]
	v_fma_f64 v[115:116], v[18:19], s[10:11], -v[119:120]
	s_delay_alu instid0(VALU_DEP_2) | instskip(SKIP_1) | instid1(VALU_DEP_3)
	v_add_f64 v[12:13], v[143:144], v[12:13]
	v_mul_f64 v[143:144], v[82:83], s[50:51]
	v_add_f64 v[108:109], v[115:116], v[108:109]
	s_delay_alu instid0(VALU_DEP_2) | instskip(SKIP_2) | instid1(VALU_DEP_3)
	v_fma_f64 v[145:146], v[16:17], s[10:11], -v[143:144]
	v_fma_f64 v[115:116], v[16:17], s[10:11], v[143:144]
	v_mul_f64 v[143:144], v[106:107], s[52:53]
	v_add_f64 v[14:15], v[145:146], v[14:15]
	v_mul_f64 v[145:146], v[90:91], s[28:29]
	s_delay_alu instid0(VALU_DEP_4) | instskip(NEXT) | instid1(VALU_DEP_2)
	v_add_f64 v[110:111], v[115:116], v[110:111]
	v_fma_f64 v[147:148], v[22:23], s[22:23], v[145:146]
	v_fma_f64 v[115:116], v[22:23], s[22:23], -v[145:146]
	v_mul_f64 v[145:146], v[104:105], s[52:53]
	s_delay_alu instid0(VALU_DEP_3) | instskip(SKIP_1) | instid1(VALU_DEP_4)
	v_add_f64 v[12:13], v[147:148], v[12:13]
	v_mul_f64 v[147:148], v[84:85], s[28:29]
	v_add_f64 v[108:109], v[115:116], v[108:109]
	s_delay_alu instid0(VALU_DEP_2) | instskip(SKIP_2) | instid1(VALU_DEP_3)
	v_fma_f64 v[159:160], v[20:21], s[22:23], -v[147:148]
	v_fma_f64 v[115:116], v[20:21], s[22:23], v[147:148]
	v_mul_f64 v[147:148], v[102:103], s[28:29]
	v_add_f64 v[14:15], v[159:160], v[14:15]
	v_mul_f64 v[159:160], v[94:95], s[30:31]
	s_delay_alu instid0(VALU_DEP_4) | instskip(NEXT) | instid1(VALU_DEP_4)
	v_add_f64 v[110:111], v[115:116], v[110:111]
	v_fma_f64 v[119:120], v[80:81], s[22:23], v[147:148]
	s_delay_alu instid0(VALU_DEP_3) | instskip(SKIP_2) | instid1(VALU_DEP_3)
	v_fma_f64 v[173:174], v[26:27], s[4:5], v[159:160]
	v_fma_f64 v[115:116], v[26:27], s[4:5], -v[159:160]
	v_mul_f64 v[159:160], v[86:87], s[38:39]
	v_add_f64 v[12:13], v[173:174], v[12:13]
	v_mul_f64 v[173:174], v[88:89], s[30:31]
	s_delay_alu instid0(VALU_DEP_4) | instskip(NEXT) | instid1(VALU_DEP_2)
	v_add_f64 v[108:109], v[115:116], v[108:109]
	v_fma_f64 v[175:176], v[24:25], s[4:5], -v[173:174]
	v_fma_f64 v[115:116], v[24:25], s[4:5], v[173:174]
	v_mul_f64 v[173:174], v[90:91], s[26:27]
	s_delay_alu instid0(VALU_DEP_3) | instskip(SKIP_1) | instid1(VALU_DEP_4)
	v_add_f64 v[14:15], v[175:176], v[14:15]
	v_mul_f64 v[175:176], v[34:35], s[34:35]
	v_add_f64 v[110:111], v[115:116], v[110:111]
	s_delay_alu instid0(VALU_DEP_2) | instskip(SKIP_2) | instid1(VALU_DEP_3)
	v_fma_f64 v[177:178], v[32:33], s[20:21], v[175:176]
	v_fma_f64 v[115:116], v[32:33], s[20:21], -v[175:176]
	v_mul_f64 v[175:176], v[84:85], s[26:27]
	v_add_f64 v[12:13], v[177:178], v[12:13]
	v_mul_f64 v[177:178], v[92:93], s[34:35]
	s_delay_alu instid0(VALU_DEP_4) | instskip(NEXT) | instid1(VALU_DEP_2)
	v_add_f64 v[108:109], v[115:116], v[108:109]
	v_fma_f64 v[179:180], v[30:31], s[20:21], -v[177:178]
	v_fma_f64 v[115:116], v[30:31], s[20:21], v[177:178]
	v_mul_f64 v[177:178], v[94:95], s[48:49]
	v_mul_f64 v[94:95], v[94:95], s[26:27]
	s_delay_alu instid0(VALU_DEP_4)
	v_add_f64 v[179:180], v[179:180], v[14:15]
	v_fma_f64 v[14:15], v[96:97], s[14:15], v[181:182]
	v_add_f64 v[115:116], v[115:116], v[110:111]
	v_fma_f64 v[110:111], v[96:97], s[14:15], -v[181:182]
	v_mul_f64 v[181:182], v[34:35], s[30:31]
	v_mul_f64 v[34:35], v[34:35], s[28:29]
	v_add_f64 v[2:3], v[14:15], v[12:13]
	v_fma_f64 v[12:13], v[28:29], s[14:15], -v[183:184]
	v_mul_f64 v[183:184], v[92:93], s[30:31]
	v_fma_f64 v[14:15], v[30:31], s[16:17], v[193:194]
	v_mul_f64 v[92:93], v[92:93], s[28:29]
	s_delay_alu instid0(VALU_DEP_4)
	v_add_f64 v[0:1], v[12:13], v[179:180]
	v_mul_f64 v[179:180], v[88:89], s[48:49]
	v_mul_f64 v[12:13], v[88:89], s[24:25]
	scratch_load_b64 v[88:89], off, off offset:232 ; 8-byte Folded Reload
	scratch_store_b128 off, v[0:3], off offset:144 ; 16-byte Folded Spill
	v_add_f64 v[0:1], v[117:118], v[115:116]
	v_fma_f64 v[115:116], v[74:75], s[14:15], v[143:144]
	v_fma_f64 v[117:118], v[72:73], s[14:15], -v[145:146]
	v_add_f64 v[2:3], v[110:111], v[108:109]
	scratch_load_b64 v[110:111], off, off offset:224 ; 8-byte Folded Reload
	v_mul_f64 v[108:109], v[84:85], s[46:47]
	s_mov_b32 s47, 0x3fe0d888
	s_mov_b32 s46, s38
	s_delay_alu instid0(SALU_CYCLE_1)
	v_mul_f64 v[229:230], v[90:91], s[46:47]
	v_mul_f64 v[231:232], v[84:85], s[46:47]
	;; [unrolled: 1-line block ×3, first 2 shown]
	v_add_f64 v[115:116], v[115:116], v[121:122]
	v_add_f64 v[117:118], v[117:118], v[149:150]
	v_mul_f64 v[149:150], v[78:79], s[28:29]
	scratch_store_b128 off, v[0:3], off offset:192 ; 16-byte Folded Spill
	v_mul_f64 v[0:1], v[106:107], s[48:49]
	v_mov_b32_e32 v2, v112
	v_mov_b32_e32 v112, v249
	v_mul_f64 v[248:249], v[84:85], s[34:35]
	v_mul_f64 v[78:79], v[78:79], s[34:35]
	v_add_f64 v[115:116], v[119:120], v[115:116]
	v_fma_f64 v[119:120], v[76:77], s[22:23], -v[149:150]
	scratch_store_b64 off, v[0:1], off offset:240 ; 8-byte Folded Spill
	v_add_f64 v[117:118], v[119:120], v[117:118]
	v_fma_f64 v[119:120], v[18:19], s[6:7], v[159:160]
	s_delay_alu instid0(VALU_DEP_1) | instskip(SKIP_1) | instid1(VALU_DEP_1)
	v_add_f64 v[115:116], v[119:120], v[115:116]
	v_fma_f64 v[119:120], v[16:17], s[6:7], -v[161:162]
	v_add_f64 v[117:118], v[119:120], v[117:118]
	v_fma_f64 v[119:120], v[22:23], s[16:17], v[173:174]
	s_delay_alu instid0(VALU_DEP_1) | instskip(SKIP_1) | instid1(VALU_DEP_1)
	v_add_f64 v[115:116], v[119:120], v[115:116]
	v_fma_f64 v[119:120], v[20:21], s[16:17], -v[175:176]
	;; [unrolled: 5-line block ×5, first 2 shown]
	v_add_f64 v[115:116], v[115:116], v[119:120]
	v_fma_f64 v[119:120], v[74:75], s[20:21], -v[0:1]
	v_mul_f64 v[0:1], v[104:105], s[48:49]
	v_mul_f64 v[104:105], v[104:105], s[46:47]
	s_delay_alu instid0(VALU_DEP_3) | instskip(NEXT) | instid1(VALU_DEP_3)
	v_add_f64 v[119:120], v[119:120], v[125:126]
	v_fma_f64 v[121:122], v[72:73], s[20:21], v[0:1]
	v_fma_f64 v[125:126], v[80:81], s[18:19], -v[163:164]
	scratch_store_b64 off, v[0:1], off offset:248 ; 8-byte Folded Spill
	v_mul_f64 v[0:1], v[86:87], s[52:53]
	v_add_f64 v[121:122], v[121:122], v[129:130]
	v_add_f64 v[119:120], v[125:126], v[119:120]
	v_fma_f64 v[125:126], v[76:77], s[18:19], v[157:158]
	v_fma_f64 v[129:130], v[80:81], s[10:11], -v[221:222]
	s_delay_alu instid0(VALU_DEP_2) | instskip(SKIP_1) | instid1(VALU_DEP_1)
	v_add_f64 v[121:122], v[125:126], v[121:122]
	v_fma_f64 v[125:126], v[18:19], s[16:17], -v[151:152]
	v_add_f64 v[119:120], v[125:126], v[119:120]
	v_fma_f64 v[125:126], v[16:17], s[16:17], v[137:138]
	s_delay_alu instid0(VALU_DEP_1) | instskip(SKIP_1) | instid1(VALU_DEP_1)
	v_add_f64 v[121:122], v[125:126], v[121:122]
	v_fma_f64 v[125:126], v[22:23], s[14:15], -v[135:136]
	v_add_f64 v[119:120], v[125:126], v[119:120]
	v_fma_f64 v[125:126], v[20:21], s[14:15], v[108:109]
	s_delay_alu instid0(VALU_DEP_1) | instskip(SKIP_1) | instid1(VALU_DEP_1)
	v_add_f64 v[121:122], v[125:126], v[121:122]
	v_fma_f64 v[125:126], v[26:27], s[10:11], -v[64:65]
	v_add_f64 v[119:120], v[125:126], v[119:120]
	v_fma_f64 v[125:126], v[24:25], s[10:11], v[12:13]
	v_fma_f64 v[12:13], v[24:25], s[10:11], -v[12:13]
	s_delay_alu instid0(VALU_DEP_2) | instskip(SKIP_2) | instid1(VALU_DEP_2)
	v_add_f64 v[121:122], v[125:126], v[121:122]
	v_fma_f64 v[125:126], v[32:33], s[6:7], -v[8:9]
	v_fma_f64 v[8:9], v[32:33], s[6:7], v[8:9]
	v_add_f64 v[119:120], v[125:126], v[119:120]
	v_fma_f64 v[125:126], v[30:31], s[6:7], v[4:5]
	v_fma_f64 v[4:5], v[30:31], s[6:7], -v[4:5]
	s_delay_alu instid0(VALU_DEP_2) | instskip(SKIP_1) | instid1(VALU_DEP_1)
	v_add_f64 v[125:126], v[125:126], v[121:122]
	v_fma_f64 v[121:122], v[96:97], s[4:5], -v[38:39]
	v_add_f64 v[121:122], v[121:122], v[119:120]
	v_fma_f64 v[119:120], v[28:29], s[4:5], v[215:216]
	s_delay_alu instid0(VALU_DEP_1) | instskip(SKIP_1) | instid1(VALU_DEP_1)
	v_add_f64 v[119:120], v[119:120], v[125:126]
	v_fma_f64 v[125:126], v[74:75], s[16:17], -v[217:218]
	v_add_f64 v[123:124], v[125:126], v[123:124]
	v_fma_f64 v[125:126], v[72:73], s[16:17], v[219:220]
	s_delay_alu instid0(VALU_DEP_2) | instskip(NEXT) | instid1(VALU_DEP_2)
	v_add_f64 v[123:124], v[129:130], v[123:124]
	v_add_f64 v[125:126], v[125:126], v[131:132]
	v_fma_f64 v[129:130], v[76:77], s[10:11], v[223:224]
	s_delay_alu instid0(VALU_DEP_1) | instskip(SKIP_1) | instid1(VALU_DEP_1)
	v_add_f64 v[125:126], v[129:130], v[125:126]
	v_fma_f64 v[129:130], v[18:19], s[4:5], -v[225:226]
	v_add_f64 v[123:124], v[129:130], v[123:124]
	v_fma_f64 v[129:130], v[16:17], s[4:5], v[227:228]
	s_delay_alu instid0(VALU_DEP_1) | instskip(SKIP_1) | instid1(VALU_DEP_1)
	v_add_f64 v[125:126], v[129:130], v[125:126]
	v_fma_f64 v[129:130], v[22:23], s[6:7], -v[229:230]
	;; [unrolled: 5-line block ×6, first 2 shown]
	v_add_f64 v[127:128], v[129:130], v[127:128]
	v_fma_f64 v[129:130], v[72:73], s[10:11], v[250:251]
	s_delay_alu instid0(VALU_DEP_1) | instskip(SKIP_2) | instid1(VALU_DEP_2)
	v_add_f64 v[129:130], v[129:130], v[155:156]
	v_mul_f64 v[155:156], v[102:103], s[44:45]
	v_mul_f64 v[102:103], v[102:103], s[34:35]
	v_fma_f64 v[131:132], v[80:81], s[4:5], -v[155:156]
	s_delay_alu instid0(VALU_DEP_1) | instskip(SKIP_1) | instid1(VALU_DEP_1)
	v_add_f64 v[127:128], v[131:132], v[127:128]
	v_fma_f64 v[131:132], v[76:77], s[4:5], v[252:253]
	v_add_f64 v[129:130], v[131:132], v[129:130]
	v_fma_f64 v[131:132], v[18:19], s[14:15], -v[0:1]
	v_fma_f64 v[0:1], v[18:19], s[14:15], v[0:1]
	s_delay_alu instid0(VALU_DEP_2) | instskip(SKIP_1) | instid1(VALU_DEP_1)
	v_add_f64 v[127:128], v[131:132], v[127:128]
	v_fma_f64 v[131:132], v[16:17], s[14:15], v[254:255]
	v_add_f64 v[129:130], v[131:132], v[129:130]
	v_fma_f64 v[131:132], v[22:23], s[20:21], -v[171:172]
	s_delay_alu instid0(VALU_DEP_1) | instskip(SKIP_1) | instid1(VALU_DEP_1)
	v_add_f64 v[127:128], v[131:132], v[127:128]
	v_fma_f64 v[131:132], v[20:21], s[20:21], v[248:249]
	v_add_f64 v[129:130], v[131:132], v[129:130]
	v_fma_f64 v[131:132], v[26:27], s[22:23], -v[36:37]
	s_delay_alu instid0(VALU_DEP_2) | instskip(NEXT) | instid1(VALU_DEP_2)
	v_add_f64 v[6:7], v[6:7], v[129:130]
	v_add_f64 v[127:128], v[131:132], v[127:128]
	s_delay_alu instid0(VALU_DEP_2) | instskip(SKIP_1) | instid1(VALU_DEP_3)
	v_add_f64 v[6:7], v[14:15], v[6:7]
	v_mul_f64 v[14:15], v[98:99], s[38:39]
	v_add_f64 v[10:11], v[10:11], v[127:128]
	v_mul_f64 v[98:99], v[98:99], s[24:25]
	s_delay_alu instid0(VALU_DEP_3) | instskip(SKIP_1) | instid1(VALU_DEP_2)
	v_fma_f64 v[127:128], v[96:97], s[6:7], -v[14:15]
	v_fma_f64 v[14:15], v[96:97], s[6:7], v[14:15]
	v_add_f64 v[129:130], v[127:128], v[10:11]
	v_mul_f64 v[10:11], v[100:101], s[38:39]
	s_delay_alu instid0(VALU_DEP_1) | instskip(SKIP_1) | instid1(VALU_DEP_2)
	v_fma_f64 v[127:128], v[28:29], s[6:7], v[10:11]
	v_fma_f64 v[10:11], v[28:29], s[6:7], -v[10:11]
	v_add_f64 v[127:128], v[127:128], v[6:7]
	v_mul_f64 v[6:7], v[106:107], s[30:31]
	s_delay_alu instid0(VALU_DEP_1) | instskip(SKIP_1) | instid1(VALU_DEP_2)
	v_fma_f64 v[131:132], v[74:75], s[4:5], -v[6:7]
	v_fma_f64 v[6:7], v[74:75], s[4:5], v[6:7]
	v_add_f64 v[68:69], v[131:132], v[68:69]
	v_fma_f64 v[131:132], v[80:81], s[14:15], -v[70:71]
	s_delay_alu instid0(VALU_DEP_1) | instskip(SKIP_1) | instid1(VALU_DEP_1)
	v_add_f64 v[68:69], v[131:132], v[68:69]
	v_fma_f64 v[131:132], v[76:77], s[14:15], v[197:198]
	v_add_f64 v[66:67], v[131:132], v[66:67]
	v_fma_f64 v[131:132], v[18:19], s[22:23], -v[141:142]
	s_delay_alu instid0(VALU_DEP_1) | instskip(SKIP_1) | instid1(VALU_DEP_1)
	v_add_f64 v[68:69], v[131:132], v[68:69]
	;; [unrolled: 5-line block ×5, first 2 shown]
	v_fma_f64 v[131:132], v[30:31], s[10:11], v[169:170]
	v_add_f64 v[66:67], v[131:132], v[66:67]
	v_fma_f64 v[131:132], v[96:97], s[20:21], -v[207:208]
	s_delay_alu instid0(VALU_DEP_1) | instskip(SKIP_2) | instid1(VALU_DEP_2)
	v_add_f64 v[133:134], v[131:132], v[68:69]
	v_mul_f64 v[68:69], v[100:101], s[34:35]
	v_mul_f64 v[100:101], v[100:101], s[24:25]
	v_fma_f64 v[131:132], v[28:29], s[20:21], v[68:69]
	v_fma_f64 v[68:69], v[28:29], s[20:21], -v[68:69]
	s_delay_alu instid0(VALU_DEP_2) | instskip(SKIP_1) | instid1(VALU_DEP_1)
	v_add_f64 v[131:132], v[131:132], v[66:67]
	v_mul_f64 v[66:67], v[106:107], s[46:47]
	v_fma_f64 v[106:107], v[74:75], s[6:7], -v[66:67]
	v_fma_f64 v[66:67], v[74:75], s[6:7], v[66:67]
	s_delay_alu instid0(VALU_DEP_2) | instskip(SKIP_2) | instid1(VALU_DEP_2)
	v_add_f64 v[106:107], v[106:107], v[167:168]
	v_fma_f64 v[167:168], v[72:73], s[6:7], v[104:105]
	v_fma_f64 v[104:105], v[72:73], s[6:7], -v[104:105]
	v_add_f64 v[167:168], v[167:168], v[165:166]
	v_fma_f64 v[165:166], v[80:81], s[20:21], -v[102:103]
	v_fma_f64 v[102:103], v[80:81], s[20:21], v[102:103]
	s_delay_alu instid0(VALU_DEP_2) | instskip(SKIP_2) | instid1(VALU_DEP_2)
	v_add_f64 v[106:107], v[165:166], v[106:107]
	v_fma_f64 v[165:166], v[76:77], s[20:21], v[78:79]
	v_fma_f64 v[78:79], v[76:77], s[20:21], -v[78:79]
	v_add_f64 v[165:166], v[165:166], v[167:168]
	v_mul_f64 v[167:168], v[86:87], s[36:37]
	s_delay_alu instid0(VALU_DEP_1) | instskip(NEXT) | instid1(VALU_DEP_1)
	v_fma_f64 v[86:87], v[18:19], s[18:19], -v[167:168]
	v_add_f64 v[86:87], v[86:87], v[106:107]
	v_mul_f64 v[106:107], v[82:83], s[36:37]
	s_delay_alu instid0(VALU_DEP_1) | instskip(NEXT) | instid1(VALU_DEP_1)
	v_fma_f64 v[82:83], v[16:17], s[18:19], v[106:107]
	v_add_f64 v[82:83], v[82:83], v[165:166]
	v_fma_f64 v[165:166], v[22:23], s[4:5], -v[90:91]
	v_fma_f64 v[90:91], v[22:23], s[4:5], v[90:91]
	s_delay_alu instid0(VALU_DEP_2) | instskip(SKIP_1) | instid1(VALU_DEP_1)
	v_add_f64 v[86:87], v[165:166], v[86:87]
	v_mul_f64 v[165:166], v[84:85], s[30:31]
	v_fma_f64 v[84:85], v[20:21], s[4:5], v[165:166]
	s_delay_alu instid0(VALU_DEP_1) | instskip(SKIP_1) | instid1(VALU_DEP_1)
	v_add_f64 v[82:83], v[84:85], v[82:83]
	v_fma_f64 v[84:85], v[26:27], s[16:17], -v[94:95]
	v_add_f64 v[84:85], v[84:85], v[86:87]
	v_fma_f64 v[86:87], v[24:25], s[16:17], v[209:210]
	s_delay_alu instid0(VALU_DEP_1) | instskip(SKIP_2) | instid1(VALU_DEP_2)
	v_add_f64 v[82:83], v[86:87], v[82:83]
	v_fma_f64 v[86:87], v[32:33], s[22:23], -v[34:35]
	v_fma_f64 v[34:35], v[32:33], s[22:23], v[34:35]
	v_add_f64 v[84:85], v[86:87], v[84:85]
	v_fma_f64 v[86:87], v[30:31], s[22:23], v[92:93]
	s_delay_alu instid0(VALU_DEP_1) | instskip(SKIP_1) | instid1(VALU_DEP_1)
	v_add_f64 v[82:83], v[86:87], v[82:83]
	v_fma_f64 v[86:87], v[96:97], s[10:11], -v[98:99]
	v_add_f64 v[84:85], v[86:87], v[84:85]
	v_fma_f64 v[86:87], v[28:29], s[10:11], v[100:101]
	s_delay_alu instid0(VALU_DEP_1) | instskip(SKIP_3) | instid1(VALU_DEP_2)
	v_add_f64 v[82:83], v[86:87], v[82:83]
	v_fma_f64 v[86:87], v[74:75], s[14:15], -v[143:144]
	v_fma_f64 v[143:144], v[28:29], s[18:19], v[187:188]
	s_waitcnt vmcnt(1)
	v_add_f64 v[86:87], v[86:87], v[88:89]
	v_fma_f64 v[88:89], v[72:73], s[14:15], v[145:146]
	s_waitcnt vmcnt(0)
	s_delay_alu instid0(VALU_DEP_1) | instskip(SKIP_1) | instid1(VALU_DEP_1)
	v_add_f64 v[88:89], v[88:89], v[110:111]
	v_fma_f64 v[110:111], v[80:81], s[22:23], -v[147:148]
	v_add_f64 v[86:87], v[110:111], v[86:87]
	v_fma_f64 v[110:111], v[76:77], s[22:23], v[149:150]
	s_delay_alu instid0(VALU_DEP_1) | instskip(SKIP_1) | instid1(VALU_DEP_1)
	v_add_f64 v[88:89], v[110:111], v[88:89]
	v_fma_f64 v[110:111], v[18:19], s[6:7], -v[159:160]
	v_add_f64 v[86:87], v[110:111], v[86:87]
	v_fma_f64 v[110:111], v[16:17], s[6:7], v[161:162]
	;; [unrolled: 5-line block ×5, first 2 shown]
	s_delay_alu instid0(VALU_DEP_1) | instskip(SKIP_1) | instid1(VALU_DEP_1)
	v_add_f64 v[110:111], v[110:111], v[88:89]
	v_fma_f64 v[88:89], v[96:97], s[18:19], -v[185:186]
	v_add_f64 v[88:89], v[88:89], v[86:87]
	s_delay_alu instid0(VALU_DEP_3)
	v_add_f64 v[86:87], v[143:144], v[110:111]
	scratch_load_b64 v[110:111], off, off offset:216 ; 8-byte Folded Reload
	s_waitcnt vmcnt(0)
	v_add_f64 v[66:67], v[66:67], v[110:111]
	scratch_load_b64 v[110:111], off, off offset:208 ; 8-byte Folded Reload
	v_add_f64 v[66:67], v[102:103], v[66:67]
	v_fma_f64 v[102:103], v[18:19], s[18:19], v[167:168]
	s_delay_alu instid0(VALU_DEP_1) | instskip(SKIP_1) | instid1(VALU_DEP_2)
	v_add_f64 v[66:67], v[102:103], v[66:67]
	v_fma_f64 v[102:103], v[16:17], s[18:19], -v[106:107]
	v_add_f64 v[66:67], v[90:91], v[66:67]
	v_fma_f64 v[90:91], v[20:21], s[4:5], -v[165:166]
	s_waitcnt vmcnt(0)
	v_add_f64 v[104:105], v[104:105], v[110:111]
	s_delay_alu instid0(VALU_DEP_1) | instskip(NEXT) | instid1(VALU_DEP_1)
	v_add_f64 v[78:79], v[78:79], v[104:105]
	v_add_f64 v[78:79], v[102:103], v[78:79]
	s_delay_alu instid0(VALU_DEP_1) | instskip(SKIP_1) | instid1(VALU_DEP_1)
	v_add_f64 v[78:79], v[90:91], v[78:79]
	v_fma_f64 v[90:91], v[26:27], s[16:17], v[94:95]
	v_add_f64 v[66:67], v[90:91], v[66:67]
	v_fma_f64 v[90:91], v[24:25], s[16:17], -v[209:210]
	s_delay_alu instid0(VALU_DEP_2) | instskip(NEXT) | instid1(VALU_DEP_2)
	v_add_f64 v[34:35], v[34:35], v[66:67]
	v_add_f64 v[78:79], v[90:91], v[78:79]
	v_fma_f64 v[66:67], v[30:31], s[22:23], -v[92:93]
	v_fma_f64 v[90:91], v[28:29], s[10:11], -v[100:101]
	s_delay_alu instid0(VALU_DEP_2) | instskip(SKIP_1) | instid1(VALU_DEP_2)
	v_add_f64 v[66:67], v[66:67], v[78:79]
	v_fma_f64 v[78:79], v[96:97], s[10:11], v[98:99]
	v_add_f64 v[90:91], v[90:91], v[66:67]
	s_delay_alu instid0(VALU_DEP_2)
	v_add_f64 v[92:93], v[78:79], v[34:35]
	s_clause 0x1
	scratch_load_b64 v[34:35], off, off offset:184
	scratch_load_b64 v[66:67], off, off offset:176
	s_waitcnt vmcnt(1)
	v_add_f64 v[6:7], v[6:7], v[34:35]
	v_fma_f64 v[34:35], v[80:81], s[14:15], v[70:71]
	s_delay_alu instid0(VALU_DEP_1) | instskip(SKIP_1) | instid1(VALU_DEP_1)
	v_add_f64 v[6:7], v[34:35], v[6:7]
	v_fma_f64 v[34:35], v[18:19], s[22:23], v[141:142]
	v_add_f64 v[6:7], v[34:35], v[6:7]
	v_fma_f64 v[34:35], v[22:23], s[18:19], v[139:140]
	s_delay_alu instid0(VALU_DEP_1) | instskip(SKIP_1) | instid1(VALU_DEP_1)
	v_add_f64 v[6:7], v[34:35], v[6:7]
	v_fma_f64 v[34:35], v[26:27], s[6:7], v[153:154]
	v_add_f64 v[6:7], v[34:35], v[6:7]
	v_fma_f64 v[34:35], v[72:73], s[4:5], -v[195:196]
	s_waitcnt vmcnt(0)
	s_delay_alu instid0(VALU_DEP_1) | instskip(SKIP_1) | instid1(VALU_DEP_1)
	v_add_f64 v[34:35], v[34:35], v[66:67]
	v_fma_f64 v[66:67], v[76:77], s[14:15], -v[197:198]
	v_add_f64 v[34:35], v[66:67], v[34:35]
	v_fma_f64 v[66:67], v[16:17], s[22:23], -v[199:200]
	s_delay_alu instid0(VALU_DEP_1) | instskip(SKIP_1) | instid1(VALU_DEP_1)
	v_add_f64 v[34:35], v[66:67], v[34:35]
	v_fma_f64 v[66:67], v[20:21], s[18:19], -v[201:202]
	v_add_f64 v[34:35], v[66:67], v[34:35]
	v_fma_f64 v[66:67], v[24:25], s[6:7], -v[203:204]
	s_delay_alu instid0(VALU_DEP_1) | instskip(SKIP_1) | instid1(VALU_DEP_1)
	v_add_f64 v[34:35], v[66:67], v[34:35]
	v_fma_f64 v[66:67], v[32:33], s[10:11], v[205:206]
	v_add_f64 v[6:7], v[66:67], v[6:7]
	v_fma_f64 v[66:67], v[30:31], s[10:11], -v[169:170]
	s_delay_alu instid0(VALU_DEP_1) | instskip(SKIP_1) | instid1(VALU_DEP_2)
	v_add_f64 v[34:35], v[66:67], v[34:35]
	v_fma_f64 v[66:67], v[96:97], s[20:21], v[207:208]
	v_add_f64 v[98:99], v[68:69], v[34:35]
	scratch_load_b64 v[34:35], off, off offset:168 ; 8-byte Folded Reload
	v_add_f64 v[100:101], v[66:67], v[6:7]
	scratch_load_b64 v[66:67], off, off offset:160 ; 8-byte Folded Reload
	v_fma_f64 v[6:7], v[74:75], s[10:11], v[246:247]
	s_waitcnt vmcnt(1)
	s_delay_alu instid0(VALU_DEP_1) | instskip(SKIP_2) | instid1(VALU_DEP_1)
	v_add_f64 v[6:7], v[6:7], v[34:35]
	v_fma_f64 v[34:35], v[72:73], s[10:11], -v[250:251]
	s_waitcnt vmcnt(0)
	v_add_f64 v[34:35], v[34:35], v[66:67]
	v_fma_f64 v[66:67], v[80:81], s[4:5], v[155:156]
	s_delay_alu instid0(VALU_DEP_1) | instskip(SKIP_1) | instid1(VALU_DEP_2)
	v_add_f64 v[6:7], v[66:67], v[6:7]
	v_fma_f64 v[66:67], v[76:77], s[4:5], -v[252:253]
	v_add_f64 v[0:1], v[0:1], v[6:7]
	s_delay_alu instid0(VALU_DEP_2) | instskip(SKIP_1) | instid1(VALU_DEP_1)
	v_add_f64 v[34:35], v[66:67], v[34:35]
	v_fma_f64 v[6:7], v[16:17], s[14:15], -v[254:255]
	v_add_f64 v[6:7], v[6:7], v[34:35]
	v_fma_f64 v[34:35], v[22:23], s[20:21], v[171:172]
	v_mov_b32_e32 v171, v243
	s_delay_alu instid0(VALU_DEP_2)
	v_add_f64 v[0:1], v[34:35], v[0:1]
	v_fma_f64 v[34:35], v[20:21], s[20:21], -v[248:249]
	v_dual_mov_b32 v249, v112 :: v_dual_mov_b32 v112, v2
	scratch_load_b64 v[2:3], off, off offset:136 ; 8-byte Folded Reload
	v_add_f64 v[6:7], v[34:35], v[6:7]
	v_fma_f64 v[34:35], v[26:27], s[22:23], v[36:37]
	s_delay_alu instid0(VALU_DEP_1) | instskip(SKIP_1) | instid1(VALU_DEP_1)
	v_add_f64 v[0:1], v[34:35], v[0:1]
	v_fma_f64 v[34:35], v[24:25], s[22:23], -v[189:190]
	v_add_f64 v[6:7], v[34:35], v[6:7]
	v_fma_f64 v[34:35], v[32:33], s[16:17], v[191:192]
	s_delay_alu instid0(VALU_DEP_1) | instskip(SKIP_1) | instid1(VALU_DEP_2)
	v_add_f64 v[0:1], v[34:35], v[0:1]
	v_fma_f64 v[34:35], v[30:31], s[16:17], -v[193:194]
	v_add_f64 v[104:105], v[14:15], v[0:1]
	v_fma_f64 v[0:1], v[74:75], s[16:17], v[217:218]
	s_delay_alu instid0(VALU_DEP_3) | instskip(SKIP_1) | instid1(VALU_DEP_2)
	v_add_f64 v[6:7], v[34:35], v[6:7]
	v_fma_f64 v[14:15], v[28:29], s[22:23], -v[244:245]
	v_add_f64 v[102:103], v[10:11], v[6:7]
	v_fma_f64 v[6:7], v[72:73], s[16:17], -v[219:220]
	v_fma_f64 v[10:11], v[80:81], s[10:11], v[221:222]
	s_waitcnt vmcnt(0)
	v_add_f64 v[0:1], v[0:1], v[2:3]
	scratch_load_b64 v[2:3], off, off offset:128 ; 8-byte Folded Reload
	v_add_f64 v[0:1], v[10:11], v[0:1]
	v_fma_f64 v[10:11], v[76:77], s[10:11], -v[223:224]
	s_waitcnt vmcnt(0)
	v_add_f64 v[6:7], v[6:7], v[2:3]
	scratch_load_b64 v[2:3], off, off offset:248 ; 8-byte Folded Reload
	v_add_f64 v[6:7], v[10:11], v[6:7]
	v_fma_f64 v[10:11], v[18:19], s[4:5], v[225:226]
	v_fma_f64 v[18:19], v[18:19], s[16:17], v[151:152]
	s_delay_alu instid0(VALU_DEP_2) | instskip(SKIP_1) | instid1(VALU_DEP_1)
	v_add_f64 v[0:1], v[10:11], v[0:1]
	v_fma_f64 v[10:11], v[16:17], s[4:5], -v[227:228]
	v_add_f64 v[6:7], v[10:11], v[6:7]
	v_fma_f64 v[10:11], v[22:23], s[6:7], v[229:230]
	s_delay_alu instid0(VALU_DEP_1) | instskip(SKIP_1) | instid1(VALU_DEP_1)
	v_add_f64 v[0:1], v[10:11], v[0:1]
	v_fma_f64 v[10:11], v[20:21], s[6:7], -v[231:232]
	v_add_f64 v[6:7], v[10:11], v[6:7]
	v_fma_f64 v[10:11], v[26:27], s[14:15], v[233:234]
	s_delay_alu instid0(VALU_DEP_1) | instskip(SKIP_1) | instid1(VALU_DEP_1)
	;; [unrolled: 5-line block ×3, first 2 shown]
	v_add_f64 v[0:1], v[10:11], v[0:1]
	v_fma_f64 v[10:11], v[30:31], s[18:19], -v[239:240]
	v_add_f64 v[6:7], v[10:11], v[6:7]
	v_fma_f64 v[10:11], v[96:97], s[22:23], v[241:242]
	s_delay_alu instid0(VALU_DEP_2) | instskip(NEXT) | instid1(VALU_DEP_2)
	v_add_f64 v[68:69], v[14:15], v[6:7]
	v_add_f64 v[70:71], v[10:11], v[0:1]
	scratch_load_b64 v[0:1], off, off offset:240 ; 8-byte Folded Reload
	v_fma_f64 v[10:11], v[80:81], s[18:19], v[163:164]
	v_fma_f64 v[14:15], v[76:77], s[18:19], -v[157:158]
	s_waitcnt vmcnt(1)
	v_fma_f64 v[6:7], v[72:73], s[20:21], -v[2:3]
	scratch_load_b64 v[2:3], off, off offset:120 ; 8-byte Folded Reload
	s_waitcnt vmcnt(1)
	v_fma_f64 v[0:1], v[74:75], s[20:21], v[0:1]
	s_waitcnt vmcnt(0)
	s_delay_alu instid0(VALU_DEP_1) | instskip(SKIP_4) | instid1(VALU_DEP_3)
	v_add_f64 v[0:1], v[0:1], v[2:3]
	scratch_load_b64 v[2:3], off, off offset:112 ; 8-byte Folded Reload
	v_add_f64 v[0:1], v[10:11], v[0:1]
	v_fma_f64 v[10:11], v[16:17], s[16:17], -v[137:138]
	v_fma_f64 v[16:17], v[20:21], s[14:15], -v[108:109]
	v_add_f64 v[0:1], v[18:19], v[0:1]
	s_waitcnt vmcnt(0)
	v_add_f64 v[6:7], v[6:7], v[2:3]
	v_fma_f64 v[2:3], v[96:97], s[4:5], v[38:39]
	s_delay_alu instid0(VALU_DEP_2) | instskip(SKIP_1) | instid1(VALU_DEP_2)
	v_add_f64 v[6:7], v[14:15], v[6:7]
	v_fma_f64 v[14:15], v[22:23], s[14:15], v[135:136]
	v_add_f64 v[6:7], v[10:11], v[6:7]
	v_fma_f64 v[10:11], v[26:27], s[10:11], v[64:65]
	s_delay_alu instid0(VALU_DEP_3) | instskip(NEXT) | instid1(VALU_DEP_3)
	v_add_f64 v[0:1], v[14:15], v[0:1]
	v_add_f64 v[6:7], v[16:17], v[6:7]
	s_delay_alu instid0(VALU_DEP_2) | instskip(NEXT) | instid1(VALU_DEP_2)
	v_add_f64 v[0:1], v[10:11], v[0:1]
	v_add_f64 v[6:7], v[12:13], v[6:7]
	s_delay_alu instid0(VALU_DEP_2) | instskip(SKIP_1) | instid1(VALU_DEP_3)
	v_add_f64 v[0:1], v[8:9], v[0:1]
	v_fma_f64 v[8:9], v[28:29], s[4:5], -v[215:216]
	v_add_f64 v[4:5], v[4:5], v[6:7]
	s_delay_alu instid0(VALU_DEP_3)
	v_add_f64 v[18:19], v[2:3], v[0:1]
	s_clause 0x1
	scratch_load_b32 v0, off, off offset:256
	scratch_load_b32 v1, off, off offset:12
	v_add_f64 v[16:17], v[8:9], v[4:5]
	s_waitcnt vmcnt(1)
	v_and_b32_e32 v0, 0xffff, v0
	s_waitcnt vmcnt(0)
	s_delay_alu instid0(VALU_DEP_1)
	v_lshl_add_u32 v0, v0, 4, v1
	scratch_load_b128 v[1:4], off, off offset:64 ; 16-byte Folded Reload
	s_waitcnt vmcnt(0)
	ds_store_b128 v0, v[1:4]
	ds_store_b128 v0, v[119:122] offset:16
	ds_store_b128 v0, v[123:126] offset:32
	;; [unrolled: 1-line block ×6, first 2 shown]
	scratch_load_b128 v[1:4], off, off offset:192 ; 16-byte Folded Reload
	s_waitcnt vmcnt(0)
	ds_store_b128 v0, v[1:4] offset:112
	scratch_load_b128 v[1:4], off, off offset:96 ; 16-byte Folded Reload
	s_waitcnt vmcnt(0)
	ds_store_b128 v0, v[1:4] offset:128
	;; [unrolled: 3-line block ×4, first 2 shown]
	ds_store_b128 v0, v[115:118] offset:176
	ds_store_b128 v0, v[90:93] offset:192
	;; [unrolled: 1-line block ×6, first 2 shown]
.LBB0_13:
	s_or_b32 exec_lo, exec_lo, s33
	s_waitcnt lgkmcnt(0)
	s_waitcnt_vscnt null, 0x0
	s_barrier
	buffer_gl0_inv
	ds_load_b128 v[0:3], v114 offset:272
	ds_load_b128 v[4:7], v114 offset:544
	;; [unrolled: 1-line block ×7, first 2 shown]
	s_mov_b32 s4, 0x667f3bcd
	s_mov_b32 s5, 0xbfe6a09e
	;; [unrolled: 1-line block ×4, first 2 shown]
	s_waitcnt lgkmcnt(6)
	v_mul_f64 v[28:29], v[46:47], v[2:3]
	v_mul_f64 v[30:31], v[46:47], v[0:1]
	s_waitcnt lgkmcnt(5)
	v_mul_f64 v[32:33], v[42:43], v[6:7]
	v_mul_f64 v[34:35], v[42:43], v[4:5]
	;; [unrolled: 3-line block ×7, first 2 shown]
	v_fma_f64 v[28:29], v[44:45], v[0:1], v[28:29]
	v_fma_f64 v[30:31], v[44:45], v[2:3], -v[30:31]
	v_fma_f64 v[4:5], v[40:41], v[4:5], v[32:33]
	v_fma_f64 v[6:7], v[40:41], v[6:7], -v[34:35]
	;; [unrolled: 2-line block ×7, first 2 shown]
	ds_load_b128 v[0:3], v114
	s_waitcnt lgkmcnt(0)
	v_add_f64 v[8:9], v[0:1], -v[8:9]
	v_add_f64 v[10:11], v[2:3], -v[10:11]
	;; [unrolled: 1-line block ×8, first 2 shown]
	v_fma_f64 v[0:1], v[0:1], 2.0, -v[8:9]
	v_fma_f64 v[2:3], v[2:3], 2.0, -v[10:11]
	;; [unrolled: 1-line block ×6, first 2 shown]
	v_add_f64 v[32:33], v[8:9], v[14:15]
	v_add_f64 v[34:35], v[10:11], -v[12:13]
	v_fma_f64 v[12:13], v[20:21], 2.0, -v[24:25]
	v_fma_f64 v[14:15], v[22:23], 2.0, -v[26:27]
	v_add_f64 v[20:21], v[16:17], v[26:27]
	v_add_f64 v[22:23], v[18:19], -v[24:25]
	v_add_f64 v[24:25], v[0:1], -v[4:5]
	;; [unrolled: 1-line block ×3, first 2 shown]
	v_fma_f64 v[36:37], v[8:9], 2.0, -v[32:33]
	v_fma_f64 v[38:39], v[10:11], 2.0, -v[34:35]
	v_add_f64 v[4:5], v[28:29], -v[12:13]
	v_add_f64 v[6:7], v[30:31], -v[14:15]
	v_fma_f64 v[14:15], v[16:17], 2.0, -v[20:21]
	v_fma_f64 v[12:13], v[18:19], 2.0, -v[22:23]
	v_fma_f64 v[8:9], v[20:21], s[6:7], v[32:33]
	v_fma_f64 v[10:11], v[22:23], s[6:7], v[34:35]
	v_fma_f64 v[40:41], v[0:1], 2.0, -v[24:25]
	v_fma_f64 v[42:43], v[2:3], 2.0, -v[26:27]
	;; [unrolled: 1-line block ×4, first 2 shown]
	v_fma_f64 v[28:29], v[14:15], s[4:5], v[36:37]
	v_fma_f64 v[30:31], v[12:13], s[4:5], v[38:39]
	v_add_f64 v[0:1], v[24:25], v[6:7]
	v_add_f64 v[2:3], v[26:27], -v[4:5]
	v_fma_f64 v[4:5], v[22:23], s[6:7], v[8:9]
	v_fma_f64 v[6:7], v[20:21], s[4:5], v[10:11]
	v_add_f64 v[8:9], v[40:41], -v[16:17]
	v_add_f64 v[10:11], v[42:43], -v[18:19]
	v_fma_f64 v[12:13], v[12:13], s[6:7], v[28:29]
	v_fma_f64 v[14:15], v[14:15], s[4:5], v[30:31]
	v_fma_f64 v[16:17], v[24:25], 2.0, -v[0:1]
	v_fma_f64 v[18:19], v[26:27], 2.0, -v[2:3]
	;; [unrolled: 1-line block ×4, first 2 shown]
	s_and_b32 s4, exec_lo, vcc_lo
	v_fma_f64 v[24:25], v[40:41], 2.0, -v[8:9]
	v_fma_f64 v[26:27], v[42:43], 2.0, -v[10:11]
	;; [unrolled: 1-line block ×4, first 2 shown]
	ds_store_b128 v113, v[0:3] offset:1632
	ds_store_b128 v113, v[4:7] offset:1904
	ds_store_b128 v113, v[16:19] offset:544
	ds_store_b128 v113, v[20:23] offset:816
	ds_store_b128 v113, v[8:11] offset:1088
	ds_store_b128 v113, v[12:15] offset:1360
	ds_store_b128 v113, v[24:27]
	ds_store_b128 v113, v[28:31] offset:272
	s_waitcnt lgkmcnt(0)
	s_barrier
	buffer_gl0_inv
	scratch_load_b64 v[11:12], off, off offset:4 ; 8-byte Folded Reload
	s_mov_b32 exec_lo, s4
	s_cbranch_execz .LBB0_15
; %bb.14:
	global_load_b128 v[0:3], v249, s[8:9]
	scratch_load_b32 v4, off, off           ; 4-byte Folded Reload
	s_mov_b32 s4, 0x1e1e1e1e
	s_mov_b32 s5, 0x3f7e1e1e
	s_waitcnt vmcnt(0)
	ds_load_b128 v[4:7], v4
	s_waitcnt lgkmcnt(0)
	v_mul_f64 v[8:9], v[6:7], v[2:3]
	v_mul_f64 v[2:3], v[4:5], v[2:3]
	s_delay_alu instid0(VALU_DEP_2) | instskip(NEXT) | instid1(VALU_DEP_2)
	v_fma_f64 v[4:5], v[4:5], v[0:1], v[8:9]
	v_fma_f64 v[0:1], v[0:1], v[6:7], -v[2:3]
	v_mad_u64_u32 v[6:7], null, s2, v11, 0
	v_mad_u64_u32 v[8:9], null, s0, v171, 0
	s_delay_alu instid0(VALU_DEP_4) | instskip(NEXT) | instid1(VALU_DEP_4)
	v_mul_f64 v[2:3], v[4:5], s[4:5]
	v_mul_f64 v[4:5], v[0:1], s[4:5]
	s_delay_alu instid0(VALU_DEP_3) | instskip(NEXT) | instid1(VALU_DEP_1)
	v_dual_mov_b32 v0, v7 :: v_dual_mov_b32 v1, v9
	v_mad_u64_u32 v[9:10], null, s3, v11, v[0:1]
	s_delay_alu instid0(VALU_DEP_1) | instskip(SKIP_1) | instid1(VALU_DEP_2)
	v_mov_b32_e32 v7, v9
	v_mad_u64_u32 v[10:11], null, s1, v171, v[1:2]
	v_lshlrev_b64 v[0:1], 4, v[6:7]
	s_delay_alu instid0(VALU_DEP_1) | instskip(NEXT) | instid1(VALU_DEP_3)
	v_add_co_u32 v0, vcc_lo, s12, v0
	v_mov_b32_e32 v9, v10
	s_delay_alu instid0(VALU_DEP_3) | instskip(NEXT) | instid1(VALU_DEP_2)
	v_add_co_ci_u32_e32 v1, vcc_lo, s13, v1, vcc_lo
	v_lshlrev_b64 v[6:7], 4, v[8:9]
	s_delay_alu instid0(VALU_DEP_1) | instskip(NEXT) | instid1(VALU_DEP_2)
	v_add_co_u32 v6, vcc_lo, v0, v6
	v_add_co_ci_u32_e32 v7, vcc_lo, v1, v7, vcc_lo
	global_store_b128 v[6:7], v[2:5], off
	global_load_b128 v[2:5], v249, s[8:9] offset:128
	ds_load_b128 v[6:9], v113 offset:128
	ds_load_b128 v[10:13], v113 offset:256
	scratch_load_b32 v16, off, off offset:60 ; 4-byte Folded Reload
	s_waitcnt vmcnt(1) lgkmcnt(1)
	v_mul_f64 v[14:15], v[8:9], v[4:5]
	v_mul_f64 v[4:5], v[6:7], v[4:5]
	s_delay_alu instid0(VALU_DEP_2) | instskip(NEXT) | instid1(VALU_DEP_2)
	v_fma_f64 v[6:7], v[6:7], v[2:3], v[14:15]
	v_fma_f64 v[4:5], v[2:3], v[8:9], -v[4:5]
	s_waitcnt vmcnt(0)
	v_mad_u64_u32 v[8:9], null, s0, v16, 0
	s_delay_alu instid0(VALU_DEP_3) | instskip(NEXT) | instid1(VALU_DEP_3)
	v_mul_f64 v[2:3], v[6:7], s[4:5]
	v_mul_f64 v[4:5], v[4:5], s[4:5]
	s_delay_alu instid0(VALU_DEP_3) | instskip(NEXT) | instid1(VALU_DEP_1)
	v_mov_b32_e32 v6, v9
	v_mad_u64_u32 v[14:15], null, s1, v16, v[6:7]
	s_delay_alu instid0(VALU_DEP_1) | instskip(NEXT) | instid1(VALU_DEP_1)
	v_mov_b32_e32 v9, v14
	v_lshlrev_b64 v[6:7], 4, v[8:9]
	s_delay_alu instid0(VALU_DEP_1) | instskip(NEXT) | instid1(VALU_DEP_2)
	v_add_co_u32 v6, vcc_lo, v0, v6
	v_add_co_ci_u32_e32 v7, vcc_lo, v1, v7, vcc_lo
	global_store_b128 v[6:7], v[2:5], off
	global_load_b128 v[2:5], v249, s[8:9] offset:256
	s_waitcnt vmcnt(0) lgkmcnt(0)
	v_mul_f64 v[6:7], v[12:13], v[4:5]
	v_mul_f64 v[4:5], v[10:11], v[4:5]
	s_delay_alu instid0(VALU_DEP_2) | instskip(SKIP_3) | instid1(VALU_DEP_2)
	v_fma_f64 v[6:7], v[10:11], v[2:3], v[6:7]
	scratch_load_b32 v11, off, off offset:56 ; 4-byte Folded Reload
	v_fma_f64 v[4:5], v[2:3], v[12:13], -v[4:5]
	v_mul_f64 v[2:3], v[6:7], s[4:5]
	v_mul_f64 v[4:5], v[4:5], s[4:5]
	s_waitcnt vmcnt(0)
	v_mad_u64_u32 v[8:9], null, s0, v11, 0
	s_delay_alu instid0(VALU_DEP_1) | instskip(NEXT) | instid1(VALU_DEP_1)
	v_mov_b32_e32 v6, v9
	v_mad_u64_u32 v[9:10], null, s1, v11, v[6:7]
	s_delay_alu instid0(VALU_DEP_1) | instskip(NEXT) | instid1(VALU_DEP_1)
	v_lshlrev_b64 v[6:7], 4, v[8:9]
	v_add_co_u32 v6, vcc_lo, v0, v6
	s_delay_alu instid0(VALU_DEP_2)
	v_add_co_ci_u32_e32 v7, vcc_lo, v1, v7, vcc_lo
	global_store_b128 v[6:7], v[2:5], off
	global_load_b128 v[2:5], v249, s[8:9] offset:384
	ds_load_b128 v[6:9], v113 offset:384
	ds_load_b128 v[10:13], v113 offset:512
	scratch_load_b32 v16, off, off offset:52 ; 4-byte Folded Reload
	s_waitcnt vmcnt(1) lgkmcnt(1)
	v_mul_f64 v[14:15], v[8:9], v[4:5]
	v_mul_f64 v[4:5], v[6:7], v[4:5]
	s_delay_alu instid0(VALU_DEP_2) | instskip(NEXT) | instid1(VALU_DEP_2)
	v_fma_f64 v[6:7], v[6:7], v[2:3], v[14:15]
	v_fma_f64 v[4:5], v[2:3], v[8:9], -v[4:5]
	s_waitcnt vmcnt(0)
	v_mad_u64_u32 v[8:9], null, s0, v16, 0
	s_delay_alu instid0(VALU_DEP_3) | instskip(NEXT) | instid1(VALU_DEP_3)
	v_mul_f64 v[2:3], v[6:7], s[4:5]
	v_mul_f64 v[4:5], v[4:5], s[4:5]
	s_delay_alu instid0(VALU_DEP_3) | instskip(NEXT) | instid1(VALU_DEP_1)
	v_mov_b32_e32 v6, v9
	v_mad_u64_u32 v[14:15], null, s1, v16, v[6:7]
	s_delay_alu instid0(VALU_DEP_1) | instskip(NEXT) | instid1(VALU_DEP_1)
	v_mov_b32_e32 v9, v14
	v_lshlrev_b64 v[6:7], 4, v[8:9]
	s_delay_alu instid0(VALU_DEP_1) | instskip(NEXT) | instid1(VALU_DEP_2)
	v_add_co_u32 v6, vcc_lo, v0, v6
	v_add_co_ci_u32_e32 v7, vcc_lo, v1, v7, vcc_lo
	global_store_b128 v[6:7], v[2:5], off
	global_load_b128 v[2:5], v249, s[8:9] offset:512
	s_waitcnt vmcnt(0) lgkmcnt(0)
	v_mul_f64 v[6:7], v[12:13], v[4:5]
	v_mul_f64 v[4:5], v[10:11], v[4:5]
	s_delay_alu instid0(VALU_DEP_2) | instskip(SKIP_3) | instid1(VALU_DEP_2)
	v_fma_f64 v[6:7], v[10:11], v[2:3], v[6:7]
	scratch_load_b32 v11, off, off offset:48 ; 4-byte Folded Reload
	v_fma_f64 v[4:5], v[2:3], v[12:13], -v[4:5]
	v_mul_f64 v[2:3], v[6:7], s[4:5]
	v_mul_f64 v[4:5], v[4:5], s[4:5]
	s_waitcnt vmcnt(0)
	v_mad_u64_u32 v[8:9], null, s0, v11, 0
	s_delay_alu instid0(VALU_DEP_1) | instskip(NEXT) | instid1(VALU_DEP_1)
	v_mov_b32_e32 v6, v9
	v_mad_u64_u32 v[9:10], null, s1, v11, v[6:7]
	s_delay_alu instid0(VALU_DEP_1) | instskip(NEXT) | instid1(VALU_DEP_1)
	v_lshlrev_b64 v[6:7], 4, v[8:9]
	v_add_co_u32 v6, vcc_lo, v0, v6
	s_delay_alu instid0(VALU_DEP_2)
	;; [unrolled: 46-line block ×5, first 2 shown]
	v_add_co_ci_u32_e32 v7, vcc_lo, v1, v7, vcc_lo
	global_store_b128 v[6:7], v[2:5], off
	global_load_b128 v[2:5], v249, s[8:9] offset:1408
	ds_load_b128 v[6:9], v113 offset:1408
	ds_load_b128 v[10:13], v113 offset:1536
	scratch_load_b32 v16, off, off offset:20 ; 4-byte Folded Reload
	s_waitcnt vmcnt(1) lgkmcnt(1)
	v_mul_f64 v[14:15], v[8:9], v[4:5]
	v_mul_f64 v[4:5], v[6:7], v[4:5]
	s_delay_alu instid0(VALU_DEP_2) | instskip(NEXT) | instid1(VALU_DEP_2)
	v_fma_f64 v[6:7], v[6:7], v[2:3], v[14:15]
	v_fma_f64 v[4:5], v[2:3], v[8:9], -v[4:5]
	s_waitcnt vmcnt(0)
	v_mad_u64_u32 v[8:9], null, s0, v16, 0
	s_delay_alu instid0(VALU_DEP_3) | instskip(NEXT) | instid1(VALU_DEP_3)
	v_mul_f64 v[2:3], v[6:7], s[4:5]
	v_mul_f64 v[4:5], v[4:5], s[4:5]
	s_delay_alu instid0(VALU_DEP_3) | instskip(NEXT) | instid1(VALU_DEP_1)
	v_mov_b32_e32 v6, v9
	v_mad_u64_u32 v[14:15], null, s1, v16, v[6:7]
	v_or_b32_e32 v16, 0x78, v171
	s_delay_alu instid0(VALU_DEP_2) | instskip(NEXT) | instid1(VALU_DEP_1)
	v_mov_b32_e32 v9, v14
	v_lshlrev_b64 v[6:7], 4, v[8:9]
	s_delay_alu instid0(VALU_DEP_1) | instskip(NEXT) | instid1(VALU_DEP_2)
	v_add_co_u32 v6, vcc_lo, v0, v6
	v_add_co_ci_u32_e32 v7, vcc_lo, v1, v7, vcc_lo
	global_store_b128 v[6:7], v[2:5], off
	global_load_b128 v[2:5], v249, s[8:9] offset:1536
	s_waitcnt vmcnt(0) lgkmcnt(0)
	v_mul_f64 v[6:7], v[12:13], v[4:5]
	v_mul_f64 v[4:5], v[10:11], v[4:5]
	s_delay_alu instid0(VALU_DEP_2) | instskip(SKIP_3) | instid1(VALU_DEP_2)
	v_fma_f64 v[6:7], v[10:11], v[2:3], v[6:7]
	scratch_load_b32 v11, off, off offset:16 ; 4-byte Folded Reload
	v_fma_f64 v[4:5], v[2:3], v[12:13], -v[4:5]
	v_mul_f64 v[2:3], v[6:7], s[4:5]
	v_mul_f64 v[4:5], v[4:5], s[4:5]
	s_waitcnt vmcnt(0)
	v_mad_u64_u32 v[8:9], null, s0, v11, 0
	s_delay_alu instid0(VALU_DEP_1) | instskip(NEXT) | instid1(VALU_DEP_1)
	v_mov_b32_e32 v6, v9
	v_mad_u64_u32 v[9:10], null, s1, v11, v[6:7]
	s_delay_alu instid0(VALU_DEP_1) | instskip(NEXT) | instid1(VALU_DEP_1)
	v_lshlrev_b64 v[6:7], 4, v[8:9]
	v_add_co_u32 v6, vcc_lo, v0, v6
	s_delay_alu instid0(VALU_DEP_2)
	v_add_co_ci_u32_e32 v7, vcc_lo, v1, v7, vcc_lo
	global_store_b128 v[6:7], v[2:5], off
	global_load_b128 v[2:5], v249, s[8:9] offset:1664
	ds_load_b128 v[6:9], v113 offset:1664
	ds_load_b128 v[10:13], v113 offset:1792
	s_waitcnt vmcnt(0) lgkmcnt(1)
	v_mul_f64 v[14:15], v[8:9], v[4:5]
	v_mul_f64 v[4:5], v[6:7], v[4:5]
	s_delay_alu instid0(VALU_DEP_2) | instskip(NEXT) | instid1(VALU_DEP_2)
	v_fma_f64 v[6:7], v[6:7], v[2:3], v[14:15]
	v_fma_f64 v[4:5], v[2:3], v[8:9], -v[4:5]
	v_mad_u64_u32 v[8:9], null, s0, v112, 0
	s_delay_alu instid0(VALU_DEP_3) | instskip(NEXT) | instid1(VALU_DEP_3)
	v_mul_f64 v[2:3], v[6:7], s[4:5]
	v_mul_f64 v[4:5], v[4:5], s[4:5]
	s_delay_alu instid0(VALU_DEP_3) | instskip(NEXT) | instid1(VALU_DEP_1)
	v_mov_b32_e32 v6, v9
	v_mad_u64_u32 v[14:15], null, s1, v112, v[6:7]
	s_delay_alu instid0(VALU_DEP_1) | instskip(NEXT) | instid1(VALU_DEP_1)
	v_mov_b32_e32 v9, v14
	v_lshlrev_b64 v[6:7], 4, v[8:9]
	s_delay_alu instid0(VALU_DEP_1) | instskip(NEXT) | instid1(VALU_DEP_2)
	v_add_co_u32 v6, vcc_lo, v0, v6
	v_add_co_ci_u32_e32 v7, vcc_lo, v1, v7, vcc_lo
	global_store_b128 v[6:7], v[2:5], off
	global_load_b128 v[2:5], v249, s[8:9] offset:1792
	s_waitcnt vmcnt(0) lgkmcnt(0)
	v_mul_f64 v[6:7], v[12:13], v[4:5]
	v_mul_f64 v[4:5], v[10:11], v[4:5]
	s_delay_alu instid0(VALU_DEP_2) | instskip(NEXT) | instid1(VALU_DEP_2)
	v_fma_f64 v[6:7], v[10:11], v[2:3], v[6:7]
	v_fma_f64 v[4:5], v[2:3], v[12:13], -v[4:5]
	v_or_b32_e32 v11, 0x70, v171
	s_delay_alu instid0(VALU_DEP_1) | instskip(NEXT) | instid1(VALU_DEP_4)
	v_mad_u64_u32 v[8:9], null, s0, v11, 0
	v_mul_f64 v[2:3], v[6:7], s[4:5]
	s_delay_alu instid0(VALU_DEP_4) | instskip(NEXT) | instid1(VALU_DEP_3)
	v_mul_f64 v[4:5], v[4:5], s[4:5]
	v_mov_b32_e32 v6, v9
	s_delay_alu instid0(VALU_DEP_1) | instskip(NEXT) | instid1(VALU_DEP_1)
	v_mad_u64_u32 v[9:10], null, s1, v11, v[6:7]
	v_lshlrev_b64 v[6:7], 4, v[8:9]
	s_delay_alu instid0(VALU_DEP_1) | instskip(NEXT) | instid1(VALU_DEP_2)
	v_add_co_u32 v6, vcc_lo, v0, v6
	v_add_co_ci_u32_e32 v7, vcc_lo, v1, v7, vcc_lo
	global_store_b128 v[6:7], v[2:5], off
	global_load_b128 v[2:5], v249, s[8:9] offset:1920
	ds_load_b128 v[6:9], v113 offset:1920
	ds_load_b128 v[10:13], v113 offset:2048
	s_waitcnt vmcnt(0) lgkmcnt(1)
	v_mul_f64 v[14:15], v[8:9], v[4:5]
	v_mul_f64 v[4:5], v[6:7], v[4:5]
	s_delay_alu instid0(VALU_DEP_2) | instskip(NEXT) | instid1(VALU_DEP_2)
	v_fma_f64 v[6:7], v[6:7], v[2:3], v[14:15]
	v_fma_f64 v[4:5], v[2:3], v[8:9], -v[4:5]
	v_mad_u64_u32 v[8:9], null, s0, v16, 0
	s_delay_alu instid0(VALU_DEP_3) | instskip(NEXT) | instid1(VALU_DEP_3)
	v_mul_f64 v[2:3], v[6:7], s[4:5]
	v_mul_f64 v[4:5], v[4:5], s[4:5]
	s_delay_alu instid0(VALU_DEP_3) | instskip(NEXT) | instid1(VALU_DEP_1)
	v_mov_b32_e32 v6, v9
	v_mad_u64_u32 v[14:15], null, s1, v16, v[6:7]
	s_delay_alu instid0(VALU_DEP_1) | instskip(NEXT) | instid1(VALU_DEP_1)
	v_mov_b32_e32 v9, v14
	v_lshlrev_b64 v[6:7], 4, v[8:9]
	s_delay_alu instid0(VALU_DEP_1) | instskip(NEXT) | instid1(VALU_DEP_2)
	v_add_co_u32 v6, vcc_lo, v0, v6
	v_add_co_ci_u32_e32 v7, vcc_lo, v1, v7, vcc_lo
	global_store_b128 v[6:7], v[2:5], off
	global_load_b128 v[2:5], v249, s[8:9] offset:2048
	s_waitcnt vmcnt(0) lgkmcnt(0)
	v_mul_f64 v[6:7], v[12:13], v[4:5]
	v_mul_f64 v[4:5], v[10:11], v[4:5]
	s_delay_alu instid0(VALU_DEP_2) | instskip(NEXT) | instid1(VALU_DEP_2)
	v_fma_f64 v[6:7], v[10:11], v[2:3], v[6:7]
	v_fma_f64 v[4:5], v[2:3], v[12:13], -v[4:5]
	v_or_b32_e32 v11, 0x80, v171
	s_delay_alu instid0(VALU_DEP_1) | instskip(NEXT) | instid1(VALU_DEP_4)
	v_mad_u64_u32 v[8:9], null, s0, v11, 0
	v_mul_f64 v[2:3], v[6:7], s[4:5]
	s_delay_alu instid0(VALU_DEP_4) | instskip(NEXT) | instid1(VALU_DEP_3)
	v_mul_f64 v[4:5], v[4:5], s[4:5]
	v_mov_b32_e32 v6, v9
	s_delay_alu instid0(VALU_DEP_1) | instskip(NEXT) | instid1(VALU_DEP_1)
	v_mad_u64_u32 v[9:10], null, s1, v11, v[6:7]
	v_lshlrev_b64 v[6:7], 4, v[8:9]
	s_delay_alu instid0(VALU_DEP_1) | instskip(NEXT) | instid1(VALU_DEP_2)
	v_add_co_u32 v0, vcc_lo, v0, v6
	v_add_co_ci_u32_e32 v1, vcc_lo, v1, v7, vcc_lo
	global_store_b128 v[0:1], v[2:5], off
.LBB0_15:
	s_nop 0
	s_sendmsg sendmsg(MSG_DEALLOC_VGPRS)
	s_endpgm
	.section	.rodata,"a",@progbits
	.p2align	6, 0x0
	.amdhsa_kernel bluestein_single_fwd_len136_dim1_dp_op_CI_CI
		.amdhsa_group_segment_fixed_size 15232
		.amdhsa_private_segment_fixed_size 660
		.amdhsa_kernarg_size 104
		.amdhsa_user_sgpr_count 15
		.amdhsa_user_sgpr_dispatch_ptr 0
		.amdhsa_user_sgpr_queue_ptr 0
		.amdhsa_user_sgpr_kernarg_segment_ptr 1
		.amdhsa_user_sgpr_dispatch_id 0
		.amdhsa_user_sgpr_private_segment_size 0
		.amdhsa_wavefront_size32 1
		.amdhsa_uses_dynamic_stack 0
		.amdhsa_enable_private_segment 1
		.amdhsa_system_sgpr_workgroup_id_x 1
		.amdhsa_system_sgpr_workgroup_id_y 0
		.amdhsa_system_sgpr_workgroup_id_z 0
		.amdhsa_system_sgpr_workgroup_info 0
		.amdhsa_system_vgpr_workitem_id 0
		.amdhsa_next_free_vgpr 256
		.amdhsa_next_free_sgpr 54
		.amdhsa_reserve_vcc 1
		.amdhsa_float_round_mode_32 0
		.amdhsa_float_round_mode_16_64 0
		.amdhsa_float_denorm_mode_32 3
		.amdhsa_float_denorm_mode_16_64 3
		.amdhsa_dx10_clamp 1
		.amdhsa_ieee_mode 1
		.amdhsa_fp16_overflow 0
		.amdhsa_workgroup_processor_mode 1
		.amdhsa_memory_ordered 1
		.amdhsa_forward_progress 0
		.amdhsa_shared_vgpr_count 0
		.amdhsa_exception_fp_ieee_invalid_op 0
		.amdhsa_exception_fp_denorm_src 0
		.amdhsa_exception_fp_ieee_div_zero 0
		.amdhsa_exception_fp_ieee_overflow 0
		.amdhsa_exception_fp_ieee_underflow 0
		.amdhsa_exception_fp_ieee_inexact 0
		.amdhsa_exception_int_div_zero 0
	.end_amdhsa_kernel
	.text
.Lfunc_end0:
	.size	bluestein_single_fwd_len136_dim1_dp_op_CI_CI, .Lfunc_end0-bluestein_single_fwd_len136_dim1_dp_op_CI_CI
                                        ; -- End function
	.section	.AMDGPU.csdata,"",@progbits
; Kernel info:
; codeLenInByte = 24468
; NumSgprs: 56
; NumVgprs: 256
; ScratchSize: 660
; MemoryBound: 0
; FloatMode: 240
; IeeeMode: 1
; LDSByteSize: 15232 bytes/workgroup (compile time only)
; SGPRBlocks: 6
; VGPRBlocks: 31
; NumSGPRsForWavesPerEU: 56
; NumVGPRsForWavesPerEU: 256
; Occupancy: 5
; WaveLimiterHint : 1
; COMPUTE_PGM_RSRC2:SCRATCH_EN: 1
; COMPUTE_PGM_RSRC2:USER_SGPR: 15
; COMPUTE_PGM_RSRC2:TRAP_HANDLER: 0
; COMPUTE_PGM_RSRC2:TGID_X_EN: 1
; COMPUTE_PGM_RSRC2:TGID_Y_EN: 0
; COMPUTE_PGM_RSRC2:TGID_Z_EN: 0
; COMPUTE_PGM_RSRC2:TIDIG_COMP_CNT: 0
	.text
	.p2alignl 7, 3214868480
	.fill 96, 4, 3214868480
	.type	__hip_cuid_d09800027eec5a1a,@object ; @__hip_cuid_d09800027eec5a1a
	.section	.bss,"aw",@nobits
	.globl	__hip_cuid_d09800027eec5a1a
__hip_cuid_d09800027eec5a1a:
	.byte	0                               ; 0x0
	.size	__hip_cuid_d09800027eec5a1a, 1

	.ident	"AMD clang version 19.0.0git (https://github.com/RadeonOpenCompute/llvm-project roc-6.4.0 25133 c7fe45cf4b819c5991fe208aaa96edf142730f1d)"
	.section	".note.GNU-stack","",@progbits
	.addrsig
	.addrsig_sym __hip_cuid_d09800027eec5a1a
	.amdgpu_metadata
---
amdhsa.kernels:
  - .args:
      - .actual_access:  read_only
        .address_space:  global
        .offset:         0
        .size:           8
        .value_kind:     global_buffer
      - .actual_access:  read_only
        .address_space:  global
        .offset:         8
        .size:           8
        .value_kind:     global_buffer
      - .actual_access:  read_only
        .address_space:  global
        .offset:         16
        .size:           8
        .value_kind:     global_buffer
      - .actual_access:  read_only
        .address_space:  global
        .offset:         24
        .size:           8
        .value_kind:     global_buffer
      - .actual_access:  read_only
        .address_space:  global
        .offset:         32
        .size:           8
        .value_kind:     global_buffer
      - .offset:         40
        .size:           8
        .value_kind:     by_value
      - .address_space:  global
        .offset:         48
        .size:           8
        .value_kind:     global_buffer
      - .address_space:  global
        .offset:         56
        .size:           8
        .value_kind:     global_buffer
      - .address_space:  global
        .offset:         64
        .size:           8
        .value_kind:     global_buffer
      - .address_space:  global
        .offset:         72
        .size:           8
        .value_kind:     global_buffer
      - .offset:         80
        .size:           4
        .value_kind:     by_value
      - .address_space:  global
        .offset:         88
        .size:           8
        .value_kind:     global_buffer
      - .address_space:  global
        .offset:         96
        .size:           8
        .value_kind:     global_buffer
    .group_segment_fixed_size: 15232
    .kernarg_segment_align: 8
    .kernarg_segment_size: 104
    .language:       OpenCL C
    .language_version:
      - 2
      - 0
    .max_flat_workgroup_size: 119
    .name:           bluestein_single_fwd_len136_dim1_dp_op_CI_CI
    .private_segment_fixed_size: 660
    .sgpr_count:     56
    .sgpr_spill_count: 0
    .symbol:         bluestein_single_fwd_len136_dim1_dp_op_CI_CI.kd
    .uniform_work_group_size: 1
    .uses_dynamic_stack: false
    .vgpr_count:     256
    .vgpr_spill_count: 203
    .wavefront_size: 32
    .workgroup_processor_mode: 1
amdhsa.target:   amdgcn-amd-amdhsa--gfx1100
amdhsa.version:
  - 1
  - 2
...

	.end_amdgpu_metadata
